;; amdgpu-corpus repo=ROCm/rocFFT kind=compiled arch=gfx1201 opt=O3
	.text
	.amdgcn_target "amdgcn-amd-amdhsa--gfx1201"
	.amdhsa_code_object_version 6
	.protected	fft_rtc_back_len4000_factors_10_10_10_4_wgs_200_tpt_200_halfLds_sp_op_CI_CI_unitstride_sbrr_R2C_dirReg ; -- Begin function fft_rtc_back_len4000_factors_10_10_10_4_wgs_200_tpt_200_halfLds_sp_op_CI_CI_unitstride_sbrr_R2C_dirReg
	.globl	fft_rtc_back_len4000_factors_10_10_10_4_wgs_200_tpt_200_halfLds_sp_op_CI_CI_unitstride_sbrr_R2C_dirReg
	.p2align	8
	.type	fft_rtc_back_len4000_factors_10_10_10_4_wgs_200_tpt_200_halfLds_sp_op_CI_CI_unitstride_sbrr_R2C_dirReg,@function
fft_rtc_back_len4000_factors_10_10_10_4_wgs_200_tpt_200_halfLds_sp_op_CI_CI_unitstride_sbrr_R2C_dirReg: ; @fft_rtc_back_len4000_factors_10_10_10_4_wgs_200_tpt_200_halfLds_sp_op_CI_CI_unitstride_sbrr_R2C_dirReg
; %bb.0:
	s_clause 0x2
	s_load_b128 s[8:11], s[0:1], 0x0
	s_load_b128 s[4:7], s[0:1], 0x58
	;; [unrolled: 1-line block ×3, first 2 shown]
	v_mul_u32_u24_e32 v1, 0x148, v0
	v_mov_b32_e32 v3, 0
	s_delay_alu instid0(VALU_DEP_2) | instskip(NEXT) | instid1(VALU_DEP_1)
	v_lshrrev_b32_e32 v1, 16, v1
	v_add_nc_u32_e32 v5, ttmp9, v1
	v_mov_b32_e32 v1, 0
	v_mov_b32_e32 v2, 0
	;; [unrolled: 1-line block ×3, first 2 shown]
	s_wait_kmcnt 0x0
	v_cmp_lt_u64_e64 s2, s[10:11], 2
	s_delay_alu instid0(VALU_DEP_1)
	s_and_b32 vcc_lo, exec_lo, s2
	s_cbranch_vccnz .LBB0_8
; %bb.1:
	s_load_b64 s[2:3], s[0:1], 0x10
	v_mov_b32_e32 v1, 0
	v_mov_b32_e32 v2, 0
	s_add_nc_u64 s[16:17], s[14:15], 8
	s_add_nc_u64 s[18:19], s[12:13], 8
	s_mov_b64 s[20:21], 1
	s_delay_alu instid0(VALU_DEP_1)
	v_dual_mov_b32 v21, v2 :: v_dual_mov_b32 v20, v1
	s_wait_kmcnt 0x0
	s_add_nc_u64 s[22:23], s[2:3], 8
	s_mov_b32 s3, 0
.LBB0_2:                                ; =>This Inner Loop Header: Depth=1
	s_load_b64 s[24:25], s[22:23], 0x0
                                        ; implicit-def: $vgpr26_vgpr27
	s_mov_b32 s2, exec_lo
	s_wait_kmcnt 0x0
	v_or_b32_e32 v4, s25, v6
	s_delay_alu instid0(VALU_DEP_1)
	v_cmpx_ne_u64_e32 0, v[3:4]
	s_wait_alu 0xfffe
	s_xor_b32 s26, exec_lo, s2
	s_cbranch_execz .LBB0_4
; %bb.3:                                ;   in Loop: Header=BB0_2 Depth=1
	s_cvt_f32_u32 s2, s24
	s_cvt_f32_u32 s27, s25
	s_sub_nc_u64 s[30:31], 0, s[24:25]
	s_wait_alu 0xfffe
	s_delay_alu instid0(SALU_CYCLE_1) | instskip(SKIP_1) | instid1(SALU_CYCLE_2)
	s_fmamk_f32 s2, s27, 0x4f800000, s2
	s_wait_alu 0xfffe
	v_s_rcp_f32 s2, s2
	s_delay_alu instid0(TRANS32_DEP_1) | instskip(SKIP_1) | instid1(SALU_CYCLE_2)
	s_mul_f32 s2, s2, 0x5f7ffffc
	s_wait_alu 0xfffe
	s_mul_f32 s27, s2, 0x2f800000
	s_wait_alu 0xfffe
	s_delay_alu instid0(SALU_CYCLE_2) | instskip(SKIP_1) | instid1(SALU_CYCLE_2)
	s_trunc_f32 s27, s27
	s_wait_alu 0xfffe
	s_fmamk_f32 s2, s27, 0xcf800000, s2
	s_cvt_u32_f32 s29, s27
	s_wait_alu 0xfffe
	s_delay_alu instid0(SALU_CYCLE_1) | instskip(SKIP_1) | instid1(SALU_CYCLE_2)
	s_cvt_u32_f32 s28, s2
	s_wait_alu 0xfffe
	s_mul_u64 s[34:35], s[30:31], s[28:29]
	s_wait_alu 0xfffe
	s_mul_hi_u32 s37, s28, s35
	s_mul_i32 s36, s28, s35
	s_mul_hi_u32 s2, s28, s34
	s_mul_i32 s33, s29, s34
	s_wait_alu 0xfffe
	s_add_nc_u64 s[36:37], s[2:3], s[36:37]
	s_mul_hi_u32 s27, s29, s34
	s_mul_hi_u32 s38, s29, s35
	s_add_co_u32 s2, s36, s33
	s_wait_alu 0xfffe
	s_add_co_ci_u32 s2, s37, s27
	s_mul_i32 s34, s29, s35
	s_add_co_ci_u32 s35, s38, 0
	s_wait_alu 0xfffe
	s_add_nc_u64 s[34:35], s[2:3], s[34:35]
	s_wait_alu 0xfffe
	v_add_co_u32 v4, s2, s28, s34
	s_delay_alu instid0(VALU_DEP_1) | instskip(SKIP_1) | instid1(VALU_DEP_1)
	s_cmp_lg_u32 s2, 0
	s_add_co_ci_u32 s29, s29, s35
	v_readfirstlane_b32 s28, v4
	s_wait_alu 0xfffe
	s_delay_alu instid0(VALU_DEP_1)
	s_mul_u64 s[30:31], s[30:31], s[28:29]
	s_wait_alu 0xfffe
	s_mul_hi_u32 s35, s28, s31
	s_mul_i32 s34, s28, s31
	s_mul_hi_u32 s2, s28, s30
	s_mul_i32 s33, s29, s30
	s_wait_alu 0xfffe
	s_add_nc_u64 s[34:35], s[2:3], s[34:35]
	s_mul_hi_u32 s27, s29, s30
	s_mul_hi_u32 s28, s29, s31
	s_wait_alu 0xfffe
	s_add_co_u32 s2, s34, s33
	s_add_co_ci_u32 s2, s35, s27
	s_mul_i32 s30, s29, s31
	s_add_co_ci_u32 s31, s28, 0
	s_wait_alu 0xfffe
	s_add_nc_u64 s[30:31], s[2:3], s[30:31]
	s_wait_alu 0xfffe
	v_add_co_u32 v4, s2, v4, s30
	s_delay_alu instid0(VALU_DEP_1) | instskip(SKIP_1) | instid1(VALU_DEP_1)
	s_cmp_lg_u32 s2, 0
	s_add_co_ci_u32 s2, s29, s31
	v_mul_hi_u32 v13, v5, v4
	s_wait_alu 0xfffe
	v_mad_co_u64_u32 v[7:8], null, v5, s2, 0
	v_mad_co_u64_u32 v[9:10], null, v6, v4, 0
	;; [unrolled: 1-line block ×3, first 2 shown]
	s_delay_alu instid0(VALU_DEP_3) | instskip(SKIP_1) | instid1(VALU_DEP_4)
	v_add_co_u32 v4, vcc_lo, v13, v7
	s_wait_alu 0xfffd
	v_add_co_ci_u32_e32 v7, vcc_lo, 0, v8, vcc_lo
	s_delay_alu instid0(VALU_DEP_2) | instskip(SKIP_1) | instid1(VALU_DEP_2)
	v_add_co_u32 v4, vcc_lo, v4, v9
	s_wait_alu 0xfffd
	v_add_co_ci_u32_e32 v4, vcc_lo, v7, v10, vcc_lo
	s_wait_alu 0xfffd
	v_add_co_ci_u32_e32 v7, vcc_lo, 0, v12, vcc_lo
	s_delay_alu instid0(VALU_DEP_2) | instskip(SKIP_1) | instid1(VALU_DEP_2)
	v_add_co_u32 v4, vcc_lo, v4, v11
	s_wait_alu 0xfffd
	v_add_co_ci_u32_e32 v9, vcc_lo, 0, v7, vcc_lo
	s_delay_alu instid0(VALU_DEP_2) | instskip(SKIP_1) | instid1(VALU_DEP_3)
	v_mul_lo_u32 v10, s25, v4
	v_mad_co_u64_u32 v[7:8], null, s24, v4, 0
	v_mul_lo_u32 v11, s24, v9
	s_delay_alu instid0(VALU_DEP_2) | instskip(NEXT) | instid1(VALU_DEP_2)
	v_sub_co_u32 v7, vcc_lo, v5, v7
	v_add3_u32 v8, v8, v11, v10
	s_delay_alu instid0(VALU_DEP_1) | instskip(SKIP_1) | instid1(VALU_DEP_1)
	v_sub_nc_u32_e32 v10, v6, v8
	s_wait_alu 0xfffd
	v_subrev_co_ci_u32_e64 v10, s2, s25, v10, vcc_lo
	v_add_co_u32 v11, s2, v4, 2
	s_wait_alu 0xf1ff
	v_add_co_ci_u32_e64 v12, s2, 0, v9, s2
	v_sub_co_u32 v13, s2, v7, s24
	v_sub_co_ci_u32_e32 v8, vcc_lo, v6, v8, vcc_lo
	s_wait_alu 0xf1ff
	v_subrev_co_ci_u32_e64 v10, s2, 0, v10, s2
	s_delay_alu instid0(VALU_DEP_3) | instskip(NEXT) | instid1(VALU_DEP_3)
	v_cmp_le_u32_e32 vcc_lo, s24, v13
	v_cmp_eq_u32_e64 s2, s25, v8
	s_wait_alu 0xfffd
	v_cndmask_b32_e64 v13, 0, -1, vcc_lo
	v_cmp_le_u32_e32 vcc_lo, s25, v10
	s_wait_alu 0xfffd
	v_cndmask_b32_e64 v14, 0, -1, vcc_lo
	v_cmp_le_u32_e32 vcc_lo, s24, v7
	;; [unrolled: 3-line block ×3, first 2 shown]
	s_wait_alu 0xfffd
	v_cndmask_b32_e64 v15, 0, -1, vcc_lo
	v_cmp_eq_u32_e32 vcc_lo, s25, v10
	s_wait_alu 0xf1ff
	s_delay_alu instid0(VALU_DEP_2)
	v_cndmask_b32_e64 v7, v15, v7, s2
	s_wait_alu 0xfffd
	v_cndmask_b32_e32 v10, v14, v13, vcc_lo
	v_add_co_u32 v13, vcc_lo, v4, 1
	s_wait_alu 0xfffd
	v_add_co_ci_u32_e32 v14, vcc_lo, 0, v9, vcc_lo
	s_delay_alu instid0(VALU_DEP_3) | instskip(SKIP_1) | instid1(VALU_DEP_2)
	v_cmp_ne_u32_e32 vcc_lo, 0, v10
	s_wait_alu 0xfffd
	v_cndmask_b32_e32 v8, v14, v12, vcc_lo
	v_cndmask_b32_e32 v10, v13, v11, vcc_lo
	v_cmp_ne_u32_e32 vcc_lo, 0, v7
	s_wait_alu 0xfffd
	s_delay_alu instid0(VALU_DEP_2)
	v_dual_cndmask_b32 v27, v9, v8 :: v_dual_cndmask_b32 v26, v4, v10
.LBB0_4:                                ;   in Loop: Header=BB0_2 Depth=1
	s_wait_alu 0xfffe
	s_and_not1_saveexec_b32 s2, s26
	s_cbranch_execz .LBB0_6
; %bb.5:                                ;   in Loop: Header=BB0_2 Depth=1
	v_cvt_f32_u32_e32 v4, s24
	s_sub_co_i32 s26, 0, s24
	v_mov_b32_e32 v27, v3
	s_delay_alu instid0(VALU_DEP_2) | instskip(NEXT) | instid1(TRANS32_DEP_1)
	v_rcp_iflag_f32_e32 v4, v4
	v_mul_f32_e32 v4, 0x4f7ffffe, v4
	s_delay_alu instid0(VALU_DEP_1) | instskip(SKIP_1) | instid1(VALU_DEP_1)
	v_cvt_u32_f32_e32 v4, v4
	s_wait_alu 0xfffe
	v_mul_lo_u32 v7, s26, v4
	s_delay_alu instid0(VALU_DEP_1) | instskip(NEXT) | instid1(VALU_DEP_1)
	v_mul_hi_u32 v7, v4, v7
	v_add_nc_u32_e32 v4, v4, v7
	s_delay_alu instid0(VALU_DEP_1) | instskip(NEXT) | instid1(VALU_DEP_1)
	v_mul_hi_u32 v4, v5, v4
	v_mul_lo_u32 v7, v4, s24
	v_add_nc_u32_e32 v8, 1, v4
	s_delay_alu instid0(VALU_DEP_2) | instskip(NEXT) | instid1(VALU_DEP_1)
	v_sub_nc_u32_e32 v7, v5, v7
	v_subrev_nc_u32_e32 v9, s24, v7
	v_cmp_le_u32_e32 vcc_lo, s24, v7
	s_wait_alu 0xfffd
	s_delay_alu instid0(VALU_DEP_2) | instskip(NEXT) | instid1(VALU_DEP_1)
	v_dual_cndmask_b32 v7, v7, v9 :: v_dual_cndmask_b32 v4, v4, v8
	v_cmp_le_u32_e32 vcc_lo, s24, v7
	s_delay_alu instid0(VALU_DEP_2) | instskip(SKIP_1) | instid1(VALU_DEP_1)
	v_add_nc_u32_e32 v8, 1, v4
	s_wait_alu 0xfffd
	v_cndmask_b32_e32 v26, v4, v8, vcc_lo
.LBB0_6:                                ;   in Loop: Header=BB0_2 Depth=1
	s_wait_alu 0xfffe
	s_or_b32 exec_lo, exec_lo, s2
	v_mul_lo_u32 v4, v27, s24
	s_delay_alu instid0(VALU_DEP_2)
	v_mul_lo_u32 v9, v26, s25
	s_load_b64 s[26:27], s[18:19], 0x0
	v_mad_co_u64_u32 v[7:8], null, v26, s24, 0
	s_load_b64 s[24:25], s[16:17], 0x0
	s_add_nc_u64 s[20:21], s[20:21], 1
	s_add_nc_u64 s[16:17], s[16:17], 8
	s_wait_alu 0xfffe
	v_cmp_ge_u64_e64 s2, s[20:21], s[10:11]
	s_add_nc_u64 s[18:19], s[18:19], 8
	s_add_nc_u64 s[22:23], s[22:23], 8
	v_add3_u32 v4, v8, v9, v4
	v_sub_co_u32 v5, vcc_lo, v5, v7
	s_wait_alu 0xfffd
	s_delay_alu instid0(VALU_DEP_2) | instskip(SKIP_2) | instid1(VALU_DEP_1)
	v_sub_co_ci_u32_e32 v4, vcc_lo, v6, v4, vcc_lo
	s_and_b32 vcc_lo, exec_lo, s2
	s_wait_kmcnt 0x0
	v_mul_lo_u32 v6, s26, v4
	v_mul_lo_u32 v7, s27, v5
	v_mad_co_u64_u32 v[1:2], null, s26, v5, v[1:2]
	v_mul_lo_u32 v4, s24, v4
	v_mul_lo_u32 v8, s25, v5
	v_mad_co_u64_u32 v[20:21], null, s24, v5, v[20:21]
	s_delay_alu instid0(VALU_DEP_4) | instskip(NEXT) | instid1(VALU_DEP_2)
	v_add3_u32 v2, v7, v2, v6
	v_add3_u32 v21, v8, v21, v4
	s_wait_alu 0xfffe
	s_cbranch_vccnz .LBB0_9
; %bb.7:                                ;   in Loop: Header=BB0_2 Depth=1
	v_dual_mov_b32 v5, v26 :: v_dual_mov_b32 v6, v27
	s_branch .LBB0_2
.LBB0_8:
	v_dual_mov_b32 v21, v2 :: v_dual_mov_b32 v20, v1
	v_dual_mov_b32 v27, v6 :: v_dual_mov_b32 v26, v5
.LBB0_9:
	s_load_b64 s[0:1], s[0:1], 0x28
	v_mul_hi_u32 v3, 0x147ae15, v0
	s_lshl_b64 s[10:11], s[10:11], 3
                                        ; implicit-def: $vgpr22
                                        ; implicit-def: $vgpr24
                                        ; implicit-def: $vgpr30
                                        ; implicit-def: $vgpr28
                                        ; implicit-def: $vgpr29
	s_wait_kmcnt 0x0
	v_cmp_gt_u64_e32 vcc_lo, s[0:1], v[26:27]
	v_cmp_le_u64_e64 s0, s[0:1], v[26:27]
	s_delay_alu instid0(VALU_DEP_1)
	s_and_saveexec_b32 s1, s0
	s_wait_alu 0xfffe
	s_xor_b32 s0, exec_lo, s1
; %bb.10:
	v_mul_u32_u24_e32 v1, 0xc8, v3
                                        ; implicit-def: $vgpr3
	s_delay_alu instid0(VALU_DEP_1) | instskip(NEXT) | instid1(VALU_DEP_1)
	v_sub_nc_u32_e32 v22, v0, v1
                                        ; implicit-def: $vgpr0
                                        ; implicit-def: $vgpr1_vgpr2
	v_add_nc_u32_e32 v24, 0xc8, v22
	v_add_nc_u32_e32 v30, 0x190, v22
	;; [unrolled: 1-line block ×4, first 2 shown]
; %bb.11:
	s_wait_alu 0xfffe
	s_or_saveexec_b32 s1, s0
	s_add_nc_u64 s[2:3], s[14:15], s[10:11]
	s_wait_alu 0xfffe
	s_xor_b32 exec_lo, exec_lo, s1
	s_cbranch_execz .LBB0_13
; %bb.12:
	s_add_nc_u64 s[10:11], s[12:13], s[10:11]
	v_lshlrev_b64_e32 v[1:2], 3, v[1:2]
	s_load_b64 s[10:11], s[10:11], 0x0
	s_wait_kmcnt 0x0
	v_mul_lo_u32 v6, s11, v26
	v_mul_lo_u32 v7, s10, v27
	v_mad_co_u64_u32 v[4:5], null, s10, v26, 0
	s_delay_alu instid0(VALU_DEP_1) | instskip(SKIP_1) | instid1(VALU_DEP_2)
	v_add3_u32 v5, v5, v7, v6
	v_mul_u32_u24_e32 v6, 0xc8, v3
	v_lshlrev_b64_e32 v[3:4], 3, v[4:5]
	s_delay_alu instid0(VALU_DEP_2) | instskip(NEXT) | instid1(VALU_DEP_1)
	v_sub_nc_u32_e32 v22, v0, v6
	v_lshlrev_b32_e32 v23, 3, v22
	s_delay_alu instid0(VALU_DEP_3) | instskip(SKIP_1) | instid1(VALU_DEP_4)
	v_add_co_u32 v0, s0, s4, v3
	s_wait_alu 0xf1ff
	v_add_co_ci_u32_e64 v3, s0, s5, v4, s0
	v_add_nc_u32_e32 v24, 0xc8, v22
	s_delay_alu instid0(VALU_DEP_3) | instskip(SKIP_1) | instid1(VALU_DEP_3)
	v_add_co_u32 v0, s0, v0, v1
	s_wait_alu 0xf1ff
	v_add_co_ci_u32_e64 v1, s0, v3, v2, s0
	v_add_nc_u32_e32 v30, 0x190, v22
	s_delay_alu instid0(VALU_DEP_3) | instskip(SKIP_1) | instid1(VALU_DEP_3)
	v_add_co_u32 v0, s0, v0, v23
	s_wait_alu 0xf1ff
	v_add_co_ci_u32_e64 v1, s0, 0, v1, s0
	s_clause 0x13
	global_load_b64 v[2:3], v[0:1], off
	global_load_b64 v[4:5], v[0:1], off offset:1600
	global_load_b64 v[6:7], v[0:1], off offset:3200
	;; [unrolled: 1-line block ×19, first 2 shown]
	v_add_nc_u32_e32 v23, 0, v23
	v_add_nc_u32_e32 v29, 0x258, v22
	;; [unrolled: 1-line block ×3, first 2 shown]
	s_delay_alu instid0(VALU_DEP_3)
	v_add_nc_u32_e32 v25, 0xc00, v23
	v_add_nc_u32_e32 v51, 0x1800, v23
	v_add_nc_u32_e32 v52, 0x2400, v23
	v_add_nc_u32_e32 v53, 0x3200, v23
	v_add_nc_u32_e32 v54, 0x3e00, v23
	v_add_nc_u32_e32 v55, 0x4a00, v23
	v_add_nc_u32_e32 v56, 0x5600, v23
	v_add_nc_u32_e32 v57, 0x6400, v23
	v_add_nc_u32_e32 v58, 0x7000, v23
	s_wait_loadcnt 0x12
	ds_store_2addr_b64 v23, v[2:3], v[4:5] offset1:200
	s_wait_loadcnt 0x10
	ds_store_2addr_b64 v25, v[6:7], v[8:9] offset0:16 offset1:216
	s_wait_loadcnt 0xe
	ds_store_2addr_b64 v51, v[10:11], v[12:13] offset0:32 offset1:232
	;; [unrolled: 2-line block ×3, first 2 shown]
	s_wait_loadcnt 0xa
	ds_store_2addr_b64 v53, v[18:19], v[31:32] offset1:200
	s_wait_loadcnt 0x8
	ds_store_2addr_b64 v54, v[33:34], v[35:36] offset0:16 offset1:216
	s_wait_loadcnt 0x6
	ds_store_2addr_b64 v55, v[37:38], v[39:40] offset0:32 offset1:232
	;; [unrolled: 2-line block ×3, first 2 shown]
	s_wait_loadcnt 0x2
	ds_store_2addr_b64 v57, v[45:46], v[47:48] offset1:200
	s_wait_loadcnt 0x0
	ds_store_2addr_b64 v58, v[49:50], v[0:1] offset0:16 offset1:216
.LBB0_13:
	s_or_b32 exec_lo, exec_lo, s1
	v_lshlrev_b32_e32 v23, 3, v22
	s_load_b64 s[2:3], s[2:3], 0x0
	global_wb scope:SCOPE_SE
	s_wait_dscnt 0x0
	s_wait_kmcnt 0x0
	s_barrier_signal -1
	s_barrier_wait -1
	v_add_nc_u32_e32 v32, 0, v23
	global_inv scope:SCOPE_SE
	v_cmp_gt_u32_e64 s0, 0x64, v22
	s_mov_b32 s1, exec_lo
	v_add_nc_u32_e32 v4, 0x1800, v32
	v_add_nc_u32_e32 v5, 0x3200, v32
	;; [unrolled: 1-line block ×4, first 2 shown]
	ds_load_2addr_b64 v[0:3], v32 offset1:200
	ds_load_2addr_b64 v[33:36], v4 offset0:32 offset1:232
	ds_load_2addr_b64 v[37:40], v5 offset1:200
	ds_load_2addr_b64 v[41:44], v6 offset0:32 offset1:232
	ds_load_2addr_b64 v[45:48], v7 offset1:200
	s_wait_dscnt 0x3
	v_add_f32_e32 v25, v0, v33
	s_wait_dscnt 0x2
	v_sub_f32_e32 v58, v37, v33
	s_wait_dscnt 0x1
	v_dual_add_f32 v31, v37, v41 :: v_dual_add_nc_u32 v4, 0xc00, v32
	v_dual_sub_f32 v55, v33, v37 :: v_dual_add_nc_u32 v8, 0x2400, v32
	s_wait_dscnt 0x0
	v_dual_add_f32 v57, v33, v45 :: v_dual_add_nc_u32 v10, 0x5600, v32
	v_sub_f32_e32 v59, v41, v45
	v_dual_sub_f32 v53, v34, v46 :: v_dual_sub_f32 v56, v45, v41
	v_fma_f32 v31, -0.5, v31, v0
	v_sub_f32_e32 v54, v38, v42
	v_add_f32_e32 v61, v38, v42
	v_fma_f32 v57, -0.5, v57, v0
	v_dual_add_f32 v0, v55, v56 :: v_dual_add_f32 v55, v58, v59
	v_fmamk_f32 v56, v53, 0xbf737871, v31
	v_fmac_f32_e32 v31, 0x3f737871, v53
	v_dual_add_f32 v60, v1, v34 :: v_dual_add_nc_u32 v9, 0x3e00, v32
	s_delay_alu instid0(VALU_DEP_3) | instskip(NEXT) | instid1(VALU_DEP_3)
	v_dual_add_f32 v25, v25, v37 :: v_dual_fmac_f32 v56, 0xbf167918, v54
	v_fmac_f32_e32 v31, 0x3f167918, v54
	v_add_nc_u32_e32 v11, 0x7000, v32
	v_dual_sub_f32 v33, v33, v45 :: v_dual_fmamk_f32 v58, v54, 0x3f737871, v57
	s_delay_alu instid0(VALU_DEP_4) | instskip(NEXT) | instid1(VALU_DEP_4)
	v_dual_add_f32 v25, v25, v41 :: v_dual_fmac_f32 v56, 0x3e9e377a, v0
	v_dual_fmac_f32 v31, 0x3e9e377a, v0 :: v_dual_add_f32 v0, v60, v38
	ds_load_2addr_b64 v[4:7], v4 offset0:16 offset1:216
	ds_load_2addr_b64 v[49:52], v8 offset0:48 offset1:248
	ds_load_2addr_b64 v[16:19], v9 offset0:16 offset1:216
	ds_load_2addr_b64 v[12:15], v10 offset0:48 offset1:248
	ds_load_2addr_b64 v[8:11], v11 offset0:16 offset1:216
	v_sub_f32_e32 v37, v37, v41
	v_fmac_f32_e32 v57, 0xbf737871, v54
	v_add_f32_e32 v54, v34, v46
	v_fma_f32 v59, -0.5, v61, v1
	v_dual_fmac_f32 v58, 0xbf167918, v53 :: v_dual_sub_f32 v41, v34, v38
	v_add_f32_e32 v0, v0, v42
	s_delay_alu instid0(VALU_DEP_4) | instskip(SKIP_3) | instid1(VALU_DEP_4)
	v_fma_f32 v54, -0.5, v54, v1
	v_sub_f32_e32 v34, v38, v34
	v_dual_sub_f32 v38, v42, v46 :: v_dual_add_f32 v25, v25, v45
	v_fmac_f32_e32 v58, 0x3e9e377a, v55
	v_fmamk_f32 v60, v37, 0xbf737871, v54
	v_fmac_f32_e32 v57, 0x3f167918, v53
	v_fmamk_f32 v53, v33, 0x3f737871, v59
	v_dual_fmac_f32 v59, 0xbf737871, v33 :: v_dual_add_f32 v34, v34, v38
	s_delay_alu instid0(VALU_DEP_4) | instskip(NEXT) | instid1(VALU_DEP_4)
	v_fmac_f32_e32 v60, 0x3f167918, v33
	v_fmac_f32_e32 v57, 0x3e9e377a, v55
	v_add_f32_e32 v55, v0, v46
	s_wait_dscnt 0x3
	v_add_f32_e32 v0, v4, v49
	s_wait_dscnt 0x0
	v_add_f32_e32 v38, v49, v8
	v_fmac_f32_e32 v60, 0x3e9e377a, v34
	global_wb scope:SCOPE_SE
	s_barrier_signal -1
	v_dual_add_f32 v0, v0, v16 :: v_dual_sub_f32 v45, v46, v42
	v_fmac_f32_e32 v54, 0x3f737871, v37
	v_fmac_f32_e32 v53, 0x3f167918, v37
	;; [unrolled: 1-line block ×3, first 2 shown]
	v_add_f32_e32 v1, v16, v12
	v_add_f32_e32 v41, v41, v45
	v_fmac_f32_e32 v54, 0xbf167918, v33
	v_dual_add_f32 v0, v0, v12 :: v_dual_sub_f32 v37, v50, v9
	s_delay_alu instid0(VALU_DEP_4) | instskip(NEXT) | instid1(VALU_DEP_4)
	v_fma_f32 v1, -0.5, v1, v4
	v_fmac_f32_e32 v53, 0x3e9e377a, v41
	s_delay_alu instid0(VALU_DEP_4) | instskip(NEXT) | instid1(VALU_DEP_4)
	v_dual_fmac_f32 v59, 0x3e9e377a, v41 :: v_dual_fmac_f32 v54, 0x3e9e377a, v34
	v_add_f32_e32 v34, v0, v8
	v_sub_f32_e32 v0, v49, v16
	v_fma_f32 v38, -0.5, v38, v4
	v_dual_sub_f32 v4, v8, v12 :: v_dual_sub_f32 v41, v17, v13
	v_dual_fmamk_f32 v33, v37, 0xbf737871, v1 :: v_dual_sub_f32 v46, v12, v8
	v_sub_f32_e32 v8, v49, v8
	s_delay_alu instid0(VALU_DEP_3) | instskip(NEXT) | instid1(VALU_DEP_4)
	v_dual_add_f32 v0, v0, v4 :: v_dual_fmac_f32 v1, 0x3f737871, v37
	v_fmamk_f32 v42, v41, 0x3f737871, v38
	v_fmac_f32_e32 v38, 0xbf737871, v41
	s_barrier_wait -1
	global_inv scope:SCOPE_SE
	v_fmac_f32_e32 v1, 0x3f167918, v41
	v_fmac_f32_e32 v42, 0xbf167918, v37
	v_sub_f32_e32 v45, v16, v49
	v_fmac_f32_e32 v33, 0xbf167918, v41
	v_fmac_f32_e32 v38, 0x3f167918, v37
	s_delay_alu instid0(VALU_DEP_3) | instskip(NEXT) | instid1(VALU_DEP_3)
	v_dual_fmac_f32 v1, 0x3e9e377a, v0 :: v_dual_add_f32 v4, v45, v46
	v_dual_fmac_f32 v33, 0x3e9e377a, v0 :: v_dual_add_f32 v0, v50, v9
	v_add_f32_e32 v41, v17, v13
	v_sub_f32_e32 v46, v17, v50
	s_delay_alu instid0(VALU_DEP_4)
	v_fmac_f32_e32 v38, 0x3e9e377a, v4
	v_fmac_f32_e32 v42, 0x3e9e377a, v4
	v_sub_f32_e32 v4, v16, v12
	v_fma_f32 v37, -0.5, v41, v5
	v_sub_f32_e32 v41, v9, v13
	v_fma_f32 v16, -0.5, v0, v5
	v_add_f32_e32 v0, v5, v50
	s_delay_alu instid0(VALU_DEP_4) | instskip(SKIP_1) | instid1(VALU_DEP_4)
	v_dual_sub_f32 v12, v50, v17 :: v_dual_fmamk_f32 v5, v8, 0x3f737871, v37
	v_sub_f32_e32 v49, v13, v9
	v_fmamk_f32 v45, v4, 0xbf737871, v16
	v_fmac_f32_e32 v16, 0x3f737871, v4
	s_delay_alu instid0(VALU_DEP_4) | instskip(NEXT) | instid1(VALU_DEP_4)
	v_dual_fmac_f32 v37, 0xbf737871, v8 :: v_dual_add_f32 v12, v12, v41
	v_add_f32_e32 v41, v46, v49
	s_delay_alu instid0(VALU_DEP_4) | instskip(NEXT) | instid1(VALU_DEP_4)
	v_fmac_f32_e32 v45, 0x3f167918, v8
	v_fmac_f32_e32 v16, 0xbf167918, v8
	s_delay_alu instid0(VALU_DEP_4) | instskip(SKIP_1) | instid1(VALU_DEP_4)
	v_fmac_f32_e32 v37, 0xbf167918, v4
	v_dual_fmac_f32 v5, 0x3f167918, v4 :: v_dual_add_f32 v0, v0, v17
	v_fmac_f32_e32 v45, 0x3e9e377a, v41
	s_delay_alu instid0(VALU_DEP_3) | instskip(NEXT) | instid1(VALU_DEP_3)
	v_dual_fmac_f32 v16, 0x3e9e377a, v41 :: v_dual_fmac_f32 v37, 0x3e9e377a, v12
	v_dual_fmac_f32 v5, 0x3e9e377a, v12 :: v_dual_add_f32 v0, v0, v13
	s_delay_alu instid0(VALU_DEP_2) | instskip(NEXT) | instid1(VALU_DEP_3)
	v_mul_f32_e32 v49, 0xbf737871, v16
	v_mul_f32_e32 v65, 0xbf4f1bbd, v37
	;; [unrolled: 1-line block ×3, first 2 shown]
	s_delay_alu instid0(VALU_DEP_4) | instskip(NEXT) | instid1(VALU_DEP_4)
	v_mul_f32_e32 v41, 0xbf167918, v5
	v_dual_add_f32 v50, v0, v9 :: v_dual_fmac_f32 v49, 0xbe9e377a, v38
	s_delay_alu instid0(VALU_DEP_4) | instskip(SKIP_3) | instid1(VALU_DEP_4)
	v_fmac_f32_e32 v65, 0x3f167918, v1
	v_mul_f32_e32 v46, 0xbf737871, v45
	v_mul_f32_e32 v61, 0xbf167918, v37
	v_fmac_f32_e32 v64, 0x3f737871, v38
	v_dual_add_f32 v0, v25, v34 :: v_dual_add_f32 v17, v59, v65
	v_mul_f32_e32 v62, 0x3f167918, v33
	s_delay_alu instid0(VALU_DEP_4)
	v_fmac_f32_e32 v61, 0xbf4f1bbd, v1
	v_add_f32_e32 v1, v55, v50
	v_fmac_f32_e32 v46, 0x3e9e377a, v42
	v_fmac_f32_e32 v41, 0x3f4f1bbd, v33
	v_dual_add_f32 v13, v54, v64 :: v_dual_fmac_f32 v62, 0x3f4f1bbd, v5
	v_sub_f32_e32 v33, v25, v34
	v_mul_f32_e32 v63, 0x3e9e377a, v45
	v_dual_add_f32 v25, v39, v43 :: v_dual_add_f32 v8, v58, v46
	v_sub_f32_e32 v37, v56, v41
	v_dual_sub_f32 v45, v57, v49 :: v_dual_sub_f32 v34, v55, v50
	v_add_f32_e32 v16, v31, v61
	v_sub_f32_e32 v38, v53, v62
	v_dual_add_f32 v4, v56, v41 :: v_dual_fmac_f32 v63, 0x3f737871, v42
	v_dual_add_f32 v12, v57, v49 :: v_dual_sub_f32 v41, v58, v46
	v_sub_f32_e32 v56, v36, v48
	v_sub_f32_e32 v50, v35, v39
	s_delay_alu instid0(VALU_DEP_4)
	v_add_f32_e32 v9, v60, v63
	v_sub_f32_e32 v57, v47, v43
	v_add_f32_e32 v58, v35, v47
	v_sub_f32_e32 v46, v54, v64
	v_fma_f32 v25, -0.5, v25, v2
	v_add_f32_e32 v5, v53, v62
	v_dual_sub_f32 v55, v40, v44 :: v_dual_add_f32 v54, v50, v57
	s_delay_alu instid0(VALU_DEP_3)
	v_dual_sub_f32 v50, v59, v65 :: v_dual_fmamk_f32 v53, v56, 0xbf737871, v25
	v_sub_f32_e32 v59, v43, v47
	v_sub_f32_e32 v49, v31, v61
	v_add_f32_e32 v31, v2, v35
	v_fma_f32 v2, -0.5, v58, v2
	v_sub_f32_e32 v42, v60, v63
	v_add_f32_e32 v60, v3, v36
	v_dual_fmac_f32 v25, 0x3f737871, v56 :: v_dual_sub_f32 v58, v39, v35
	s_delay_alu instid0(VALU_DEP_4)
	v_fmamk_f32 v57, v55, 0x3f737871, v2
	v_dual_add_f32 v61, v40, v44 :: v_dual_fmac_f32 v2, 0xbf737871, v55
	v_add_f32_e32 v31, v31, v39
	v_fmac_f32_e32 v53, 0xbf167918, v55
	v_fmac_f32_e32 v25, 0x3f167918, v55
	v_add_f32_e32 v58, v58, v59
	v_fma_f32 v59, -0.5, v61, v3
	v_sub_f32_e32 v35, v35, v47
	v_add_f32_e32 v55, v60, v40
	v_dual_fmac_f32 v2, 0x3f167918, v56 :: v_dual_add_f32 v31, v31, v43
	v_dual_sub_f32 v39, v39, v43 :: v_dual_sub_f32 v60, v14, v10
	v_fmac_f32_e32 v57, 0xbf167918, v56
	s_delay_alu instid0(VALU_DEP_3) | instskip(SKIP_4) | instid1(VALU_DEP_3)
	v_dual_fmac_f32 v2, 0x3e9e377a, v58 :: v_dual_add_f32 v31, v31, v47
	v_add_f32_e32 v47, v55, v44
	v_add_f32_e32 v55, v36, v48
	v_sub_f32_e32 v43, v36, v40
	v_dual_sub_f32 v56, v48, v44 :: v_dual_fmac_f32 v57, 0x3e9e377a, v58
	v_dual_add_f32 v58, v47, v48 :: v_dual_fmac_f32 v3, -0.5, v55
	v_fmac_f32_e32 v53, 0x3e9e377a, v54
	s_delay_alu instid0(VALU_DEP_3) | instskip(SKIP_4) | instid1(VALU_DEP_3)
	v_add_f32_e32 v43, v43, v56
	v_sub_f32_e32 v36, v40, v36
	v_sub_f32_e32 v40, v44, v48
	v_fmamk_f32 v56, v39, 0xbf737871, v3
	v_dual_fmac_f32 v25, 0x3e9e377a, v54 :: v_dual_add_f32 v44, v6, v51
	v_dual_fmac_f32 v3, 0x3f737871, v39 :: v_dual_add_f32 v36, v36, v40
	s_delay_alu instid0(VALU_DEP_3) | instskip(SKIP_1) | instid1(VALU_DEP_2)
	v_fmac_f32_e32 v56, 0x3f167918, v35
	v_add_f32_e32 v40, v18, v14
	v_fmac_f32_e32 v56, 0x3e9e377a, v36
	v_fmamk_f32 v54, v35, 0x3f737871, v59
	v_fmac_f32_e32 v59, 0xbf737871, v35
	s_delay_alu instid0(VALU_DEP_4) | instskip(SKIP_1) | instid1(VALU_DEP_4)
	v_fma_f32 v40, -0.5, v40, v6
	v_fmac_f32_e32 v3, 0xbf167918, v35
	v_fmac_f32_e32 v54, 0x3f167918, v39
	s_delay_alu instid0(VALU_DEP_4) | instskip(SKIP_1) | instid1(VALU_DEP_3)
	v_fmac_f32_e32 v59, 0xbf167918, v39
	v_add_f32_e32 v39, v44, v18
	v_dual_fmac_f32 v3, 0x3e9e377a, v36 :: v_dual_fmac_f32 v54, 0x3e9e377a, v43
	s_delay_alu instid0(VALU_DEP_2) | instskip(NEXT) | instid1(VALU_DEP_1)
	v_add_f32_e32 v35, v39, v14
	v_add_f32_e32 v44, v35, v10
	v_sub_f32_e32 v35, v19, v15
	v_add_f32_e32 v39, v51, v10
	v_sub_f32_e32 v55, v18, v51
	s_delay_alu instid0(VALU_DEP_2) | instskip(SKIP_1) | instid1(VALU_DEP_2)
	v_fma_f32 v36, -0.5, v39, v6
	v_sub_f32_e32 v6, v51, v18
	v_fmamk_f32 v48, v35, 0x3f737871, v36
	v_dual_fmac_f32 v36, 0xbf737871, v35 :: v_dual_sub_f32 v47, v10, v14
	v_sub_f32_e32 v14, v18, v14
	v_sub_f32_e32 v10, v51, v10
	;; [unrolled: 1-line block ×3, first 2 shown]
	s_delay_alu instid0(VALU_DEP_4) | instskip(SKIP_3) | instid1(VALU_DEP_2)
	v_add_f32_e32 v6, v6, v47
	v_fmac_f32_e32 v59, 0x3e9e377a, v43
	v_sub_f32_e32 v43, v52, v11
	v_add_f32_e32 v47, v55, v60
	v_fmamk_f32 v39, v43, 0xbf737871, v40
	v_fmac_f32_e32 v40, 0x3f737871, v43
	v_fmac_f32_e32 v36, 0x3f167918, v43
	;; [unrolled: 1-line block ×3, first 2 shown]
	s_delay_alu instid0(VALU_DEP_4) | instskip(NEXT) | instid1(VALU_DEP_4)
	v_fmac_f32_e32 v39, 0xbf167918, v35
	v_fmac_f32_e32 v40, 0x3f167918, v35
	v_add_f32_e32 v35, v19, v15
	s_delay_alu instid0(VALU_DEP_3) | instskip(NEXT) | instid1(VALU_DEP_3)
	v_fmac_f32_e32 v39, 0x3e9e377a, v6
	v_fmac_f32_e32 v40, 0x3e9e377a, v6
	v_add_f32_e32 v6, v52, v11
	s_delay_alu instid0(VALU_DEP_4) | instskip(SKIP_2) | instid1(VALU_DEP_4)
	v_fma_f32 v43, -0.5, v35, v7
	v_sub_f32_e32 v55, v15, v11
	v_add_f32_e32 v35, v7, v52
	v_dual_fmac_f32 v7, -0.5, v6 :: v_dual_sub_f32 v6, v52, v19
	v_sub_f32_e32 v52, v19, v52
	v_fmac_f32_e32 v36, 0x3e9e377a, v47
	v_fmac_f32_e32 v48, 0x3e9e377a, v47
	s_delay_alu instid0(VALU_DEP_4) | instskip(SKIP_4) | instid1(VALU_DEP_4)
	v_fmamk_f32 v51, v14, 0xbf737871, v7
	v_fmac_f32_e32 v7, 0x3f737871, v14
	v_add_f32_e32 v6, v6, v18
	v_dual_add_f32 v18, v52, v55 :: v_dual_fmamk_f32 v47, v10, 0x3f737871, v43
	v_mul_f32_e32 v61, 0x3f167918, v39
	v_fmac_f32_e32 v7, 0xbf167918, v10
	s_delay_alu instid0(VALU_DEP_1) | instskip(NEXT) | instid1(VALU_DEP_1)
	v_fmac_f32_e32 v7, 0x3e9e377a, v18
	v_mul_f32_e32 v63, 0xbe9e377a, v7
	v_mul_f32_e32 v52, 0xbf737871, v7
	v_fmac_f32_e32 v51, 0x3f167918, v10
	s_delay_alu instid0(VALU_DEP_3) | instskip(SKIP_1) | instid1(VALU_DEP_4)
	v_fmac_f32_e32 v63, 0x3f737871, v36
	v_dual_fmac_f32 v43, 0xbf737871, v10 :: v_dual_add_f32 v10, v35, v19
	v_fmac_f32_e32 v52, 0xbe9e377a, v36
	s_delay_alu instid0(VALU_DEP_2) | instskip(NEXT) | instid1(VALU_DEP_3)
	v_dual_add_f32 v36, v3, v63 :: v_dual_fmac_f32 v43, 0xbf167918, v14
	v_dual_add_f32 v10, v10, v15 :: v_dual_fmac_f32 v47, 0x3f167918, v14
	s_delay_alu instid0(VALU_DEP_3) | instskip(NEXT) | instid1(VALU_DEP_2)
	v_add_f32_e32 v35, v2, v52
	v_dual_fmac_f32 v43, 0x3e9e377a, v6 :: v_dual_add_f32 v60, v10, v11
	v_fmac_f32_e32 v51, 0x3e9e377a, v18
	s_delay_alu instid0(VALU_DEP_4) | instskip(NEXT) | instid1(VALU_DEP_3)
	v_dual_fmac_f32 v47, 0x3e9e377a, v6 :: v_dual_add_f32 v6, v31, v44
	v_mul_f32_e32 v55, 0xbf167918, v43
	s_delay_alu instid0(VALU_DEP_4)
	v_dual_mul_f32 v64, 0xbf4f1bbd, v43 :: v_dual_add_f32 v7, v58, v60
	v_sub_f32_e32 v43, v31, v44
	v_sub_f32_e32 v44, v58, v60
	v_mul_f32_e32 v62, 0x3e9e377a, v51
	v_mul_f32_e32 v14, 0xbf167918, v47
	v_fmac_f32_e32 v61, 0x3f4f1bbd, v47
	v_fmac_f32_e32 v64, 0x3f167918, v40
	s_delay_alu instid0(VALU_DEP_4) | instskip(NEXT) | instid1(VALU_DEP_4)
	v_fmac_f32_e32 v62, 0x3f737871, v48
	v_fmac_f32_e32 v14, 0x3f4f1bbd, v39
	v_mul_f32_e32 v15, 0xbf737871, v51
	s_delay_alu instid0(VALU_DEP_2) | instskip(SKIP_2) | instid1(VALU_DEP_4)
	v_dual_add_f32 v11, v54, v61 :: v_dual_add_f32 v10, v53, v14
	v_sub_f32_e32 v47, v53, v14
	v_dual_sub_f32 v53, v2, v52 :: v_dual_and_b32 v14, 0xff, v22
	v_dual_sub_f32 v52, v56, v62 :: v_dual_fmac_f32 v15, 0x3e9e377a, v48
	v_sub_f32_e32 v48, v54, v61
	s_delay_alu instid0(VALU_DEP_3)
	v_mul_lo_u16 v2, 0xcd, v14
	v_sub_f32_e32 v54, v3, v63
	v_mad_u32_u24 v3, 0x48, v22, v32
	v_add_f32_e32 v18, v57, v15
	v_sub_f32_e32 v51, v57, v15
	v_lshrrev_b16 v15, 11, v2
	ds_store_2addr_b64 v3, v[0:1], v[4:5] offset1:1
	ds_store_2addr_b64 v3, v[8:9], v[12:13] offset0:2 offset1:3
	v_add_nc_u32_e32 v12, 0x3800, v32
	ds_store_2addr_b64 v3, v[16:17], v[33:34] offset0:4 offset1:5
	ds_store_2addr_b64 v3, v[37:38], v[41:42] offset0:6 offset1:7
	v_mul_lo_u16 v2, v15, 10
	v_and_b32_e32 v14, 0xffff, v24
	v_and_b32_e32 v15, 0xffff, v15
	s_delay_alu instid0(VALU_DEP_3) | instskip(SKIP_1) | instid1(VALU_DEP_4)
	v_sub_nc_u16 v0, v22, v2
	v_add_f32_e32 v19, v56, v62
	v_mul_u32_u24_e32 v1, 0xcccd, v14
	v_sub_f32_e32 v56, v59, v64
	s_delay_alu instid0(VALU_DEP_4) | instskip(NEXT) | instid1(VALU_DEP_3)
	v_and_b32_e32 v16, 0xff, v0
	v_lshrrev_b32_e32 v2, 19, v1
	s_delay_alu instid0(VALU_DEP_2) | instskip(NEXT) | instid1(VALU_DEP_2)
	v_mul_u32_u24_e32 v0, 9, v16
	v_mul_lo_u16 v1, v2, 10
	v_mul_u32_u24_e32 v2, 0x320, v2
	s_delay_alu instid0(VALU_DEP_3) | instskip(SKIP_3) | instid1(VALU_DEP_3)
	v_lshlrev_b32_e32 v0, 3, v0
	v_fmac_f32_e32 v55, 0xbf4f1bbd, v40
	v_add_f32_e32 v40, v59, v64
	v_sub_nc_u16 v1, v24, v1
	v_add_f32_e32 v39, v25, v55
	v_sub_f32_e32 v55, v25, v55
	v_mul_i32_i24_e32 v25, 10, v24
	s_delay_alu instid0(VALU_DEP_1)
	v_lshl_add_u32 v8, v25, 3, 0
	ds_store_2addr_b64 v3, v[45:46], v[49:50] offset0:8 offset1:9
	ds_store_2addr_b64 v8, v[6:7], v[10:11] offset1:1
	ds_store_2addr_b64 v8, v[18:19], v[35:36] offset0:2 offset1:3
	v_add_nc_u32_e32 v10, 0x1e00, v32
	ds_store_2addr_b64 v8, v[39:40], v[43:44] offset0:4 offset1:5
	ds_store_2addr_b64 v8, v[47:48], v[51:52] offset0:6 offset1:7
	;; [unrolled: 1-line block ×3, first 2 shown]
	global_wb scope:SCOPE_SE
	s_wait_dscnt 0x0
	s_barrier_signal -1
	s_barrier_wait -1
	global_inv scope:SCOPE_SE
	s_clause 0x1
	global_load_b128 v[33:36], v0, s[8:9]
	global_load_b128 v[37:40], v0, s[8:9] offset:16
	v_and_b32_e32 v3, 0xffff, v1
	v_lshl_add_u32 v7, v30, 3, 0
	v_lshl_add_u32 v6, v28, 3, 0
	v_mad_i32_i24 v4, 0xffffffb8, v24, v8
	s_delay_alu instid0(VALU_DEP_4) | instskip(NEXT) | instid1(VALU_DEP_1)
	v_mul_u32_u24_e32 v1, 9, v3
	v_lshlrev_b32_e32 v1, 3, v1
	s_clause 0x7
	global_load_b128 v[41:44], v1, s[8:9] offset:16
	global_load_b128 v[45:48], v0, s[8:9] offset:32
	;; [unrolled: 1-line block ×3, first 2 shown]
	global_load_b128 v[53:56], v1, s[8:9]
	global_load_b64 v[17:18], v0, s[8:9] offset:64
	global_load_b128 v[57:60], v1, s[8:9] offset:32
	global_load_b128 v[61:64], v1, s[8:9] offset:48
	global_load_b64 v[85:86], v1, s[8:9] offset:64
	ds_load_b64 v[81:82], v7
	ds_load_b64 v[83:84], v6
	ds_load_2addr_b64 v[65:68], v10 offset0:40 offset1:240
	v_add_nc_u32_e32 v5, 0x2b00, v32
	v_add_nc_u32_e32 v11, 0x4400, v32
	;; [unrolled: 1-line block ×4, first 2 shown]
	ds_load_2addr_b64 v[69:72], v5 offset0:24 offset1:224
	ds_load_2addr_b64 v[73:76], v12 offset0:8 offset1:208
	ds_load_2addr_b64 v[77:80], v11 offset0:24 offset1:224
	ds_load_b64 v[0:1], v4
	ds_load_b64 v[87:88], v32 offset:30400
	s_wait_loadcnt_dscnt 0x907
	v_mul_f32_e32 v89, v34, v82
	v_mul_f32_e32 v14, v34, v81
	s_wait_dscnt 0x6
	v_mul_f32_e32 v90, v36, v84
	v_mul_f32_e32 v19, v36, v83
	s_wait_loadcnt_dscnt 0x805
	v_mul_f32_e32 v91, v38, v68
	v_fmac_f32_e32 v89, v33, v81
	v_fma_f32 v92, v33, v82, -v14
	v_fmac_f32_e32 v90, v35, v83
	v_fma_f32 v93, v35, v84, -v19
	ds_load_2addr_b64 v[81:84], v9 offset0:40 offset1:240
	s_wait_dscnt 0x5
	v_dual_mul_f32 v25, v38, v67 :: v_dual_mul_f32 v14, v71, v40
	v_dual_fmac_f32 v91, v37, v67 :: v_dual_mul_f32 v94, v72, v40
	s_wait_loadcnt 0x7
	v_mul_f32_e32 v19, v69, v42
	s_delay_alu instid0(VALU_DEP_3)
	v_fma_f32 v67, v37, v68, -v25
	v_mul_f32_e32 v25, v70, v42
	ds_load_2addr_b64 v[34:37], v13 offset0:24 offset1:224
	v_fma_f32 v68, v72, v39, -v14
	s_wait_loadcnt_dscnt 0x605
	v_dual_mul_f32 v14, v73, v44 :: v_dual_mul_f32 v31, v75, v46
	v_fmac_f32_e32 v25, v69, v41
	v_dual_mul_f32 v69, v74, v44 :: v_dual_mul_f32 v44, v76, v46
	s_wait_dscnt 0x4
	v_mul_f32_e32 v46, v80, v48
	s_wait_loadcnt 0x4
	v_dual_fmac_f32 v94, v71, v39 :: v_dual_mul_f32 v71, v66, v56
	v_dual_fmac_f32 v44, v75, v45 :: v_dual_lshlrev_b32 v3, 3, v3
	v_fma_f32 v45, v76, v45, -v31
	v_fmac_f32_e32 v46, v79, v47
	s_wait_dscnt 0x1
	v_dual_mul_f32 v33, v79, v48 :: v_dual_mul_f32 v48, v84, v50
	v_mul_f32_e32 v31, v83, v50
	s_delay_alu instid0(VALU_DEP_2) | instskip(NEXT) | instid1(VALU_DEP_3)
	v_fma_f32 v47, v80, v47, -v33
	v_fmac_f32_e32 v48, v83, v49
	s_delay_alu instid0(VALU_DEP_3)
	v_fma_f32 v49, v84, v49, -v31
	v_mul_f32_e32 v31, v65, v56
	s_wait_loadcnt 0x2
	v_mul_f32_e32 v56, v82, v60
	v_fma_f32 v19, v70, v41, -v19
	v_fma_f32 v70, v74, v43, -v14
	v_add_nc_u32_e32 v14, 0x6a00, v32
	s_wait_dscnt 0x0
	v_mul_f32_e32 v50, v37, v52
	v_dual_mul_f32 v33, v36, v52 :: v_dual_fmac_f32 v56, v81, v59
	v_fmac_f32_e32 v69, v73, v43
	ds_load_2addr_b64 v[38:41], v14 offset0:8 offset1:208
	v_fmac_f32_e32 v50, v36, v51
	v_fma_f32 v51, v37, v51, -v33
	ds_load_b64 v[36:37], v32 offset:4800
	ds_load_b64 v[42:43], v32
	global_wb scope:SCOPE_SE
	s_wait_loadcnt_dscnt 0x0
	s_barrier_signal -1
	s_barrier_wait -1
	global_inv scope:SCOPE_SE
	v_mul_f32_e32 v52, v41, v18
	v_mul_f32_e32 v18, v40, v18
	s_delay_alu instid0(VALU_DEP_2) | instskip(NEXT) | instid1(VALU_DEP_2)
	v_fmac_f32_e32 v52, v40, v17
	v_fma_f32 v40, v41, v17, -v18
	v_mul_f32_e32 v17, v37, v54
	v_mul_f32_e32 v18, v36, v54
	s_delay_alu instid0(VALU_DEP_2) | instskip(SKIP_2) | instid1(VALU_DEP_4)
	v_dual_mul_f32 v54, v78, v58 :: v_dual_fmac_f32 v17, v36, v53
	v_mul_f32_e32 v36, v81, v60
	v_dual_mul_f32 v60, v88, v86 :: v_dual_fmac_f32 v71, v65, v55
	v_fma_f32 v18, v37, v53, -v18
	s_delay_alu instid0(VALU_DEP_4) | instskip(NEXT) | instid1(VALU_DEP_3)
	v_dual_mul_f32 v37, v34, v62 :: v_dual_fmac_f32 v54, v77, v57
	v_fmac_f32_e32 v60, v87, v85
	v_fma_f32 v55, v66, v55, -v31
	v_mul_f32_e32 v31, v77, v58
	v_mul_f32_e32 v58, v35, v62
	s_delay_alu instid0(VALU_DEP_2) | instskip(NEXT) | instid1(VALU_DEP_2)
	v_fma_f32 v33, v78, v57, -v31
	v_fmac_f32_e32 v58, v34, v61
	v_add_f32_e32 v34, v94, v46
	v_fma_f32 v57, v82, v59, -v36
	v_fma_f32 v31, v35, v61, -v37
	v_add_f32_e32 v36, v42, v90
	s_delay_alu instid0(VALU_DEP_4) | instskip(SKIP_1) | instid1(VALU_DEP_1)
	v_fma_f32 v53, -0.5, v34, v42
	v_dual_sub_f32 v34, v93, v51 :: v_dual_mul_f32 v35, v38, v64
	v_fmamk_f32 v62, v34, 0xbf737871, v53
	s_delay_alu instid0(VALU_DEP_2) | instskip(SKIP_2) | instid1(VALU_DEP_1)
	v_fma_f32 v61, v39, v63, -v35
	v_add_f32_e32 v35, v36, v94
	v_dual_sub_f32 v36, v68, v47 :: v_dual_fmac_f32 v53, 0x3f737871, v34
	v_fmac_f32_e32 v62, 0xbf167918, v36
	v_mul_f32_e32 v59, v39, v64
	v_add_f32_e32 v39, v90, v50
	s_delay_alu instid0(VALU_DEP_4) | instskip(NEXT) | instid1(VALU_DEP_2)
	v_fmac_f32_e32 v53, 0x3f167918, v36
	v_fma_f32 v42, -0.5, v39, v42
	v_add_f32_e32 v39, v43, v93
	s_delay_alu instid0(VALU_DEP_2) | instskip(SKIP_1) | instid1(VALU_DEP_3)
	v_fmamk_f32 v65, v36, 0x3f737871, v42
	v_fmac_f32_e32 v42, 0xbf737871, v36
	v_dual_add_f32 v36, v39, v68 :: v_dual_sub_f32 v37, v90, v94
	v_add_f32_e32 v35, v35, v46
	v_fmac_f32_e32 v59, v38, v63
	v_sub_f32_e32 v38, v50, v46
	v_fmac_f32_e32 v65, 0xbf167918, v34
	v_fmac_f32_e32 v42, 0x3f167918, v34
	v_add_f32_e32 v64, v35, v50
	v_dual_sub_f32 v35, v94, v90 :: v_dual_add_f32 v34, v36, v47
	v_add_f32_e32 v37, v37, v38
	v_sub_f32_e32 v38, v46, v50
	v_add_f32_e32 v36, v93, v51
	s_delay_alu instid0(VALU_DEP_4) | instskip(NEXT) | instid1(VALU_DEP_3)
	v_add_f32_e32 v73, v34, v51
	v_add_f32_e32 v35, v35, v38
	v_sub_f32_e32 v38, v90, v50
	v_mul_f32_e32 v41, v87, v86
	v_sub_f32_e32 v39, v93, v68
	v_sub_f32_e32 v50, v48, v52
	v_fmac_f32_e32 v42, 0x3e9e377a, v35
	v_fmac_f32_e32 v62, 0x3e9e377a, v37
	v_fma_f32 v63, v88, v85, -v41
	v_add_f32_e32 v41, v68, v47
	s_delay_alu instid0(VALU_DEP_1) | instskip(SKIP_2) | instid1(VALU_DEP_3)
	v_fma_f32 v66, -0.5, v41, v43
	v_sub_f32_e32 v41, v51, v47
	v_dual_fmac_f32 v43, -0.5, v36 :: v_dual_sub_f32 v36, v47, v51
	v_dual_sub_f32 v47, v44, v91 :: v_dual_fmamk_f32 v72, v38, 0x3f737871, v66
	s_delay_alu instid0(VALU_DEP_3) | instskip(SKIP_3) | instid1(VALU_DEP_1)
	v_add_f32_e32 v34, v39, v41
	v_dual_fmac_f32 v66, 0xbf737871, v38 :: v_dual_add_f32 v39, v89, v91
	v_fmac_f32_e32 v53, 0x3e9e377a, v37
	v_sub_f32_e32 v37, v94, v46
	v_fmamk_f32 v74, v37, 0xbf737871, v43
	s_delay_alu instid0(VALU_DEP_4) | instskip(SKIP_1) | instid1(VALU_DEP_3)
	v_fmac_f32_e32 v66, 0xbf167918, v37
	v_fmac_f32_e32 v65, 0x3e9e377a, v35
	v_dual_sub_f32 v35, v68, v93 :: v_dual_fmac_f32 v74, 0x3f167918, v38
	s_delay_alu instid0(VALU_DEP_1) | instskip(SKIP_1) | instid1(VALU_DEP_2)
	v_dual_fmac_f32 v66, 0x3e9e377a, v34 :: v_dual_add_f32 v35, v35, v36
	v_add_f32_e32 v36, v39, v44
	v_dual_sub_f32 v39, v52, v48 :: v_dual_fmac_f32 v74, 0x3e9e377a, v35
	v_fmac_f32_e32 v72, 0x3f167918, v37
	s_delay_alu instid0(VALU_DEP_1) | instskip(NEXT) | instid1(VALU_DEP_4)
	v_fmac_f32_e32 v72, 0x3e9e377a, v34
	v_add_f32_e32 v34, v36, v48
	v_add_f32_e32 v36, v91, v52
	s_delay_alu instid0(VALU_DEP_2) | instskip(SKIP_3) | instid1(VALU_DEP_1)
	v_add_f32_e32 v46, v34, v52
	v_sub_f32_e32 v34, v45, v49
	v_fmac_f32_e32 v43, 0x3f737871, v37
	v_add_f32_e32 v37, v44, v48
	v_fma_f32 v37, -0.5, v37, v89
	v_fmac_f32_e32 v89, -0.5, v36
	s_delay_alu instid0(VALU_DEP_4) | instskip(SKIP_3) | instid1(VALU_DEP_4)
	v_dual_sub_f32 v36, v91, v44 :: v_dual_fmac_f32 v43, 0xbf167918, v38
	v_sub_f32_e32 v38, v67, v40
	v_sub_f32_e32 v44, v44, v48
	v_sub_f32_e32 v48, v40, v49
	v_add_f32_e32 v36, v36, v39
	v_fmac_f32_e32 v43, 0x3e9e377a, v35
	v_fmamk_f32 v35, v38, 0xbf737871, v37
	v_fmac_f32_e32 v37, 0x3f737871, v38
	v_add_f32_e32 v39, v47, v50
	v_sub_f32_e32 v51, v45, v67
	s_delay_alu instid0(VALU_DEP_4) | instskip(NEXT) | instid1(VALU_DEP_4)
	v_fmac_f32_e32 v35, 0xbf167918, v34
	v_fmac_f32_e32 v37, 0x3f167918, v34
	s_delay_alu instid0(VALU_DEP_2) | instskip(NEXT) | instid1(VALU_DEP_2)
	v_fmac_f32_e32 v35, 0x3e9e377a, v36
	v_fmac_f32_e32 v37, 0x3e9e377a, v36
	v_dual_add_f32 v36, v67, v40 :: v_dual_fmamk_f32 v41, v34, 0x3f737871, v89
	v_dual_fmac_f32 v89, 0xbf737871, v34 :: v_dual_add_f32 v34, v45, v49
	s_delay_alu instid0(VALU_DEP_1) | instskip(NEXT) | instid1(VALU_DEP_2)
	v_fmac_f32_e32 v89, 0x3f167918, v38
	v_fma_f32 v47, -0.5, v34, v92
	v_sub_f32_e32 v34, v91, v52
	v_dual_sub_f32 v52, v49, v40 :: v_dual_fmac_f32 v41, 0xbf167918, v38
	v_add_f32_e32 v38, v92, v67
	v_fmac_f32_e32 v92, -0.5, v36
	v_sub_f32_e32 v36, v67, v45
	s_delay_alu instid0(VALU_DEP_2) | instskip(SKIP_1) | instid1(VALU_DEP_3)
	v_fmamk_f32 v50, v44, 0xbf737871, v92
	v_fmac_f32_e32 v92, 0x3f737871, v44
	v_add_f32_e32 v36, v36, v48
	v_add_f32_e32 v48, v51, v52
	s_delay_alu instid0(VALU_DEP_4)
	v_fmac_f32_e32 v50, 0x3f167918, v34
	v_fmac_f32_e32 v41, 0x3e9e377a, v39
	;; [unrolled: 1-line block ×4, first 2 shown]
	v_fmamk_f32 v39, v34, 0x3f737871, v47
	v_dual_fmac_f32 v47, 0xbf737871, v34 :: v_dual_add_f32 v34, v38, v45
	s_delay_alu instid0(VALU_DEP_1) | instskip(SKIP_1) | instid1(VALU_DEP_2)
	v_dual_fmac_f32 v47, 0xbf167918, v44 :: v_dual_add_f32 v34, v34, v49
	v_fmac_f32_e32 v92, 0x3e9e377a, v48
	v_add_f32_e32 v67, v34, v40
	v_fmac_f32_e32 v50, 0x3e9e377a, v48
	s_delay_alu instid0(VALU_DEP_3) | instskip(SKIP_2) | instid1(VALU_DEP_4)
	v_mul_f32_e32 v76, 0xbe9e377a, v92
	v_add_f32_e32 v34, v64, v46
	v_sub_f32_e32 v46, v64, v46
	v_mul_f32_e32 v49, 0xbf737871, v50
	v_mul_f32_e32 v75, 0x3e9e377a, v50
	s_delay_alu instid0(VALU_DEP_2) | instskip(SKIP_1) | instid1(VALU_DEP_3)
	v_fmac_f32_e32 v49, 0x3e9e377a, v41
	v_mul_f32_e32 v51, 0xbf737871, v92
	v_fmac_f32_e32 v75, 0x3f737871, v41
	v_fmac_f32_e32 v76, 0x3f737871, v89
	s_delay_alu instid0(VALU_DEP_4) | instskip(SKIP_3) | instid1(VALU_DEP_2)
	v_add_f32_e32 v38, v65, v49
	v_sub_f32_e32 v50, v65, v49
	v_fmac_f32_e32 v51, 0xbe9e377a, v89
	v_fmac_f32_e32 v39, 0x3f167918, v44
	v_dual_fmac_f32 v47, 0x3e9e377a, v36 :: v_dual_add_f32 v40, v42, v51
	s_delay_alu instid0(VALU_DEP_2) | instskip(NEXT) | instid1(VALU_DEP_2)
	v_dual_sub_f32 v42, v42, v51 :: v_dual_fmac_f32 v39, 0x3e9e377a, v36
	v_mul_f32_e32 v77, 0xbf4f1bbd, v47
	s_delay_alu instid0(VALU_DEP_2) | instskip(NEXT) | instid1(VALU_DEP_2)
	v_mul_f32_e32 v68, 0x3f4f1bbd, v39
	v_fmac_f32_e32 v77, 0x3f167918, v37
	v_dual_mul_f32 v52, 0xbf167918, v47 :: v_dual_add_f32 v47, v69, v56
	s_delay_alu instid0(VALU_DEP_3) | instskip(NEXT) | instid1(VALU_DEP_3)
	v_fmac_f32_e32 v68, 0x3f167918, v35
	v_dual_mul_f32 v48, 0xbf167918, v39 :: v_dual_add_f32 v45, v66, v77
	s_delay_alu instid0(VALU_DEP_3) | instskip(NEXT) | instid1(VALU_DEP_4)
	v_fmac_f32_e32 v52, 0xbf4f1bbd, v37
	v_fma_f32 v65, -0.5, v47, v0
	s_delay_alu instid0(VALU_DEP_3) | instskip(SKIP_1) | instid1(VALU_DEP_4)
	v_dual_add_f32 v37, v72, v68 :: v_dual_fmac_f32 v48, 0x3f4f1bbd, v35
	v_add_f32_e32 v35, v73, v67
	v_add_f32_e32 v44, v53, v52
	v_dual_sub_f32 v52, v53, v52 :: v_dual_add_f32 v53, v0, v71
	s_delay_alu instid0(VALU_DEP_1)
	v_add_f32_e32 v53, v53, v69
	v_sub_f32_e32 v49, v72, v68
	v_dual_sub_f32 v72, v59, v56 :: v_dual_add_f32 v39, v74, v75
	v_add_f32_e32 v41, v43, v76
	v_add_f32_e32 v36, v62, v48
	v_sub_f32_e32 v48, v62, v48
	v_sub_f32_e32 v62, v55, v61
	v_dual_sub_f32 v68, v71, v69 :: v_dual_sub_f32 v47, v73, v67
	v_sub_f32_e32 v67, v70, v57
	s_delay_alu instid0(VALU_DEP_3) | instskip(NEXT) | instid1(VALU_DEP_3)
	v_dual_add_f32 v73, v71, v59 :: v_dual_fmamk_f32 v64, v62, 0xbf737871, v65
	v_dual_add_f32 v68, v68, v72 :: v_dual_fmac_f32 v65, 0x3f737871, v62
	s_delay_alu instid0(VALU_DEP_2) | instskip(SKIP_4) | instid1(VALU_DEP_4)
	v_fmac_f32_e32 v64, 0xbf167918, v67
	v_dual_sub_f32 v51, v74, v75 :: v_dual_add_f32 v74, v53, v56
	v_dual_sub_f32 v43, v43, v76 :: v_dual_add_f32 v76, v70, v57
	v_fma_f32 v0, -0.5, v73, v0
	v_sub_f32_e32 v53, v66, v77
	v_add_f32_e32 v66, v74, v59
	v_sub_f32_e32 v74, v56, v59
	v_fmac_f32_e32 v64, 0x3e9e377a, v68
	v_dual_fmamk_f32 v72, v67, 0x3f737871, v0 :: v_dual_sub_f32 v73, v69, v71
	v_fmac_f32_e32 v0, 0xbf737871, v67
	v_dual_fmac_f32 v65, 0x3f167918, v67 :: v_dual_sub_f32 v56, v69, v56
	s_delay_alu instid0(VALU_DEP_3) | instskip(NEXT) | instid1(VALU_DEP_4)
	v_fmac_f32_e32 v72, 0xbf167918, v62
	v_add_f32_e32 v73, v73, v74
	v_add_f32_e32 v75, v1, v55
	v_fma_f32 v74, -0.5, v76, v1
	v_dual_fmac_f32 v0, 0x3f167918, v62 :: v_dual_sub_f32 v59, v71, v59
	s_delay_alu instid0(VALU_DEP_3) | instskip(SKIP_2) | instid1(VALU_DEP_4)
	v_dual_fmac_f32 v72, 0x3e9e377a, v73 :: v_dual_add_f32 v67, v75, v70
	v_dual_fmac_f32 v65, 0x3e9e377a, v68 :: v_dual_add_f32 v68, v55, v61
	v_sub_f32_e32 v71, v61, v57
	v_fmac_f32_e32 v0, 0x3e9e377a, v73
	s_delay_alu instid0(VALU_DEP_4) | instskip(SKIP_4) | instid1(VALU_DEP_2)
	v_add_f32_e32 v62, v67, v57
	v_sub_f32_e32 v69, v55, v70
	v_fmamk_f32 v67, v59, 0x3f737871, v74
	v_dual_fmac_f32 v74, 0xbf737871, v59 :: v_dual_sub_f32 v57, v57, v61
	v_sub_f32_e32 v75, v58, v60
	v_dual_fmac_f32 v74, 0xbf167918, v56 :: v_dual_add_f32 v73, v62, v61
	v_add_f32_e32 v61, v17, v25
	v_dual_fmac_f32 v1, -0.5, v68 :: v_dual_add_f32 v62, v69, v71
	v_fmac_f32_e32 v67, 0x3f167918, v56
	v_dual_sub_f32 v71, v54, v25 :: v_dual_sub_f32 v68, v60, v58
	s_delay_alu instid0(VALU_DEP_3) | instskip(SKIP_2) | instid1(VALU_DEP_2)
	v_fmamk_f32 v69, v56, 0xbf737871, v1
	v_dual_fmac_f32 v1, 0x3f737871, v56 :: v_dual_add_f32 v56, v61, v54
	v_dual_fmac_f32 v74, 0x3e9e377a, v62 :: v_dual_sub_f32 v61, v19, v63
	v_dual_add_f32 v56, v56, v58 :: v_dual_sub_f32 v55, v70, v55
	s_delay_alu instid0(VALU_DEP_1) | instskip(SKIP_1) | instid1(VALU_DEP_1)
	v_dual_fmac_f32 v67, 0x3e9e377a, v62 :: v_dual_add_f32 v62, v56, v60
	v_dual_sub_f32 v56, v25, v54 :: v_dual_fmac_f32 v69, 0x3f167918, v59
	v_add_f32_e32 v56, v56, v68
	v_add_f32_e32 v68, v71, v75
	;; [unrolled: 1-line block ×4, first 2 shown]
	v_fmac_f32_e32 v1, 0xbf167918, v59
	v_add_f32_e32 v59, v25, v60
	v_dual_sub_f32 v25, v25, v60 :: v_dual_sub_f32 v54, v54, v58
	s_delay_alu instid0(VALU_DEP_4) | instskip(SKIP_1) | instid1(VALU_DEP_4)
	v_fma_f32 v57, -0.5, v57, v17
	v_fmac_f32_e32 v69, 0x3e9e377a, v55
	v_fmac_f32_e32 v17, -0.5, v59
	v_sub_f32_e32 v58, v63, v31
	v_fmac_f32_e32 v1, 0x3e9e377a, v55
	v_sub_f32_e32 v55, v33, v31
	v_dual_fmamk_f32 v59, v61, 0xbf737871, v57 :: v_dual_add_f32 v60, v18, v19
	v_fmac_f32_e32 v57, 0x3f737871, v61
	v_sub_f32_e32 v71, v31, v63
	s_delay_alu instid0(VALU_DEP_4) | instskip(NEXT) | instid1(VALU_DEP_4)
	v_fmamk_f32 v70, v55, 0x3f737871, v17
	v_fmac_f32_e32 v59, 0xbf167918, v55
	v_fmac_f32_e32 v17, 0xbf737871, v55
	v_fmac_f32_e32 v57, 0x3f167918, v55
	s_delay_alu instid0(VALU_DEP_4) | instskip(NEXT) | instid1(VALU_DEP_4)
	v_dual_add_f32 v55, v33, v31 :: v_dual_fmac_f32 v70, 0xbf167918, v61
	v_fmac_f32_e32 v59, 0x3e9e377a, v56
	s_delay_alu instid0(VALU_DEP_4) | instskip(NEXT) | instid1(VALU_DEP_4)
	v_fmac_f32_e32 v17, 0x3f167918, v61
	v_dual_fmac_f32 v57, 0x3e9e377a, v56 :: v_dual_add_f32 v56, v19, v63
	s_delay_alu instid0(VALU_DEP_4) | instskip(SKIP_1) | instid1(VALU_DEP_4)
	v_fma_f32 v55, -0.5, v55, v18
	v_fmac_f32_e32 v70, 0x3e9e377a, v68
	v_fmac_f32_e32 v17, 0x3e9e377a, v68
	s_delay_alu instid0(VALU_DEP_3) | instskip(SKIP_1) | instid1(VALU_DEP_2)
	v_dual_fmac_f32 v18, -0.5, v56 :: v_dual_fmamk_f32 v61, v25, 0x3f737871, v55
	v_sub_f32_e32 v56, v19, v33
	v_dual_fmac_f32 v55, 0xbf737871, v25 :: v_dual_fmamk_f32 v68, v54, 0xbf737871, v18
	v_fmac_f32_e32 v18, 0x3f737871, v54
	s_delay_alu instid0(VALU_DEP_3) | instskip(NEXT) | instid1(VALU_DEP_3)
	v_add_f32_e32 v56, v56, v58
	v_fmac_f32_e32 v55, 0xbf167918, v54
	s_delay_alu instid0(VALU_DEP_1) | instskip(NEXT) | instid1(VALU_DEP_1)
	v_fmac_f32_e32 v55, 0x3e9e377a, v56
	v_mul_f32_e32 v78, 0xbf4f1bbd, v55
	v_dual_sub_f32 v19, v33, v19 :: v_dual_fmac_f32 v68, 0x3f167918, v25
	v_fmac_f32_e32 v18, 0xbf167918, v25
	v_add_f32_e32 v25, v60, v33
	s_delay_alu instid0(VALU_DEP_3) | instskip(SKIP_1) | instid1(VALU_DEP_2)
	v_add_f32_e32 v19, v19, v71
	v_mul_f32_e32 v71, 0xbf167918, v55
	v_fmac_f32_e32 v68, 0x3e9e377a, v19
	v_fmac_f32_e32 v18, 0x3e9e377a, v19
	v_add_f32_e32 v19, v25, v31
	s_delay_alu instid0(VALU_DEP_3) | instskip(SKIP_1) | instid1(VALU_DEP_4)
	v_mul_f32_e32 v31, 0xbf737871, v68
	v_mul_f32_e32 v76, 0x3e9e377a, v68
	;; [unrolled: 1-line block ×4, first 2 shown]
	v_add_f32_e32 v63, v19, v63
	v_fmac_f32_e32 v31, 0x3e9e377a, v70
	v_fmac_f32_e32 v76, 0x3f737871, v70
	;; [unrolled: 1-line block ×3, first 2 shown]
	v_add_f32_e32 v54, v66, v62
	v_sub_f32_e32 v62, v66, v62
	v_dual_sub_f32 v66, v72, v31 :: v_dual_fmac_f32 v33, 0xbe9e377a, v17
	s_delay_alu instid0(VALU_DEP_4) | instskip(SKIP_2) | instid1(VALU_DEP_4)
	v_dual_fmac_f32 v61, 0x3e9e377a, v56 :: v_dual_add_f32 v58, v72, v31
	v_fmac_f32_e32 v71, 0xbf4f1bbd, v57
	v_fmac_f32_e32 v77, 0x3f737871, v17
	v_add_f32_e32 v60, v0, v33
	s_delay_alu instid0(VALU_DEP_4)
	v_mul_f32_e32 v75, 0x3f4f1bbd, v61
	v_mul_f32_e32 v25, 0xbf167918, v61
	v_sub_f32_e32 v68, v0, v33
	v_mul_u32_u24_e32 v0, 0x320, v15
	v_lshlrev_b32_e32 v15, 3, v16
	v_fmac_f32_e32 v75, 0x3f167918, v59
	v_fmac_f32_e32 v25, 0x3f4f1bbd, v59
	v_add_f32_e32 v18, v65, v71
	v_dual_fmac_f32 v78, 0x3f167918, v57 :: v_dual_add_f32 v59, v69, v76
	s_delay_alu instid0(VALU_DEP_4)
	v_add_f32_e32 v57, v67, v75
	v_add_f32_e32 v61, v1, v77
	v_sub_f32_e32 v70, v65, v71
	v_sub_f32_e32 v65, v67, v75
	;; [unrolled: 1-line block ×4, first 2 shown]
	v_add3_u32 v0, 0, v0, v15
	v_add_nc_u32_e32 v1, 0xffffff9c, v22
	v_lshrrev_b16 v15, 2, v24
	ds_store_2addr_b64 v0, v[34:35], v[36:37] offset1:10
	ds_store_2addr_b64 v0, v[38:39], v[40:41] offset0:20 offset1:30
	ds_store_2addr_b64 v0, v[44:45], v[46:47] offset0:40 offset1:50
	s_wait_alu 0xf1ff
	v_cndmask_b32_e64 v16, v1, v22, s0
	v_and_b32_e32 v1, 0xffff, v15
	ds_store_2addr_b64 v0, v[48:49], v[50:51] offset0:60 offset1:70
	v_add3_u32 v17, 0, v2, v3
	ds_store_2addr_b64 v0, v[42:43], v[52:53] offset0:80 offset1:90
	v_mul_i32_i24_e32 v0, 9, v16
	v_mul_u32_u24_e32 v2, 0x147b, v1
	v_dual_mov_b32 v1, 0 :: v_dual_add_f32 v56, v64, v25
	v_dual_add_f32 v55, v73, v63 :: v_dual_sub_f32 v64, v64, v25
	s_delay_alu instid0(VALU_DEP_3) | instskip(NEXT) | instid1(VALU_DEP_3)
	v_lshrrev_b32_e32 v15, 17, v2
	v_lshlrev_b64_e32 v[2:3], 3, v[0:1]
	v_sub_f32_e32 v71, v74, v78
	v_add_f32_e32 v19, v74, v78
	v_sub_f32_e32 v63, v73, v63
	v_mul_lo_u16 v0, 0x64, v15
	ds_store_2addr_b64 v17, v[54:55], v[56:57] offset1:10
	ds_store_2addr_b64 v17, v[58:59], v[60:61] offset0:20 offset1:30
	ds_store_2addr_b64 v17, v[18:19], v[62:63] offset0:40 offset1:50
	v_add_co_u32 v2, s0, s8, v2
	s_wait_alu 0xf1ff
	v_add_co_ci_u32_e64 v3, s0, s9, v3, s0
	v_sub_nc_u16 v0, v24, v0
	ds_store_2addr_b64 v17, v[64:65], v[66:67] offset0:60 offset1:70
	ds_store_2addr_b64 v17, v[68:69], v[70:71] offset0:80 offset1:90
	global_wb scope:SCOPE_SE
	s_wait_dscnt 0x0
	s_barrier_signal -1
	s_barrier_wait -1
	global_inv scope:SCOPE_SE
	s_clause 0x1
	global_load_b128 v[33:36], v[2:3], off offset:720
	global_load_b128 v[37:40], v[2:3], off offset:736
	v_and_b32_e32 v0, 0xffff, v0
	v_mul_u32_u24_e32 v15, 0x1f40, v15
	v_cmp_lt_u32_e64 s0, 0x63, v22
	v_lshlrev_b32_e32 v16, 3, v16
	s_delay_alu instid0(VALU_DEP_4) | instskip(SKIP_1) | instid1(VALU_DEP_2)
	v_mul_u32_u24_e32 v17, 9, v0
	v_lshlrev_b32_e32 v0, 3, v0
	v_lshlrev_b32_e32 v17, 3, v17
	s_clause 0x7
	global_load_b128 v[41:44], v17, s[8:9] offset:736
	global_load_b128 v[45:48], v[2:3], off offset:752
	global_load_b128 v[49:52], v[2:3], off offset:768
	global_load_b128 v[53:56], v17, s[8:9] offset:720
	global_load_b64 v[81:82], v[2:3], off offset:784
	global_load_b128 v[57:60], v17, s[8:9] offset:752
	global_load_b128 v[61:64], v17, s[8:9] offset:768
	global_load_b64 v[83:84], v17, s[8:9] offset:784
	ds_load_b64 v[17:18], v7
	ds_load_b64 v[85:86], v6
	ds_load_2addr_b64 v[65:68], v10 offset0:40 offset1:240
	ds_load_2addr_b64 v[69:72], v5 offset0:24 offset1:224
	ds_load_b64 v[87:88], v32 offset:30400
	ds_load_2addr_b64 v[73:76], v12 offset0:8 offset1:208
	ds_load_b64 v[2:3], v4
	ds_load_2addr_b64 v[77:80], v11 offset0:24 offset1:224
	v_add3_u32 v0, 0, v15, v0
	s_delay_alu instid0(VALU_DEP_1)
	v_add_nc_u32_e32 v15, 0x400, v0
	s_wait_loadcnt_dscnt 0x907
	v_mul_f32_e32 v89, v34, v18
	s_wait_dscnt 0x6
	v_dual_mul_f32 v19, v34, v17 :: v_dual_mul_f32 v90, v36, v86
	s_wait_loadcnt_dscnt 0x805
	s_delay_alu instid0(VALU_DEP_2) | instskip(NEXT) | instid1(VALU_DEP_2)
	v_dual_mul_f32 v92, v38, v68 :: v_dual_fmac_f32 v89, v33, v17
	v_fma_f32 v91, v33, v18, -v19
	v_dual_mul_f32 v17, v36, v85 :: v_dual_mul_f32 v18, v38, v67
	v_fmac_f32_e32 v90, v35, v85
	s_wait_dscnt 0x4
	v_dual_fmac_f32 v92, v37, v67 :: v_dual_mul_f32 v67, v40, v72
	s_delay_alu instid0(VALU_DEP_3)
	v_fma_f32 v85, v35, v86, -v17
	v_mul_f32_e32 v17, v40, v71
	v_fma_f32 v68, v37, v68, -v18
	s_wait_loadcnt 0x7
	v_mul_f32_e32 v25, v70, v42
	v_dual_mul_f32 v18, v69, v42 :: v_dual_fmac_f32 v67, v39, v71
	v_fma_f32 v71, v39, v72, -v17
	ds_load_2addr_b64 v[34:37], v9 offset0:40 offset1:240
	v_fmac_f32_e32 v25, v69, v41
	v_fma_f32 v19, v70, v41, -v18
	ds_load_2addr_b64 v[38:41], v13 offset0:24 offset1:224
	s_wait_dscnt 0x4
	v_mul_f32_e32 v17, v73, v44
	s_wait_loadcnt 0x6
	v_dual_mul_f32 v69, v74, v44 :: v_dual_mul_f32 v72, v76, v46
	s_wait_dscnt 0x2
	v_mul_f32_e32 v18, v79, v48
	v_fma_f32 v70, v74, v43, -v17
	v_dual_mul_f32 v17, v75, v46 :: v_dual_mul_f32 v46, v80, v48
	v_dual_fmac_f32 v69, v73, v43 :: v_dual_fmac_f32 v72, v75, v45
	s_wait_loadcnt 0x4
	v_mul_f32_e32 v74, v66, v56
	s_delay_alu instid0(VALU_DEP_3)
	v_fma_f32 v48, v76, v45, -v17
	ds_load_b64 v[44:45], v32 offset:4800
	v_fmac_f32_e32 v46, v79, v47
	v_fma_f32 v47, v80, v47, -v18
	v_fmac_f32_e32 v74, v65, v55
	s_wait_dscnt 0x2
	v_mul_f32_e32 v73, v37, v50
	s_wait_dscnt 0x1
	v_dual_mul_f32 v17, v36, v50 :: v_dual_mul_f32 v50, v41, v52
	v_mul_f32_e32 v18, v40, v52
	s_delay_alu instid0(VALU_DEP_3) | instskip(NEXT) | instid1(VALU_DEP_3)
	v_fmac_f32_e32 v73, v36, v49
	v_fma_f32 v49, v37, v49, -v17
	ds_load_b64 v[36:37], v32
	v_fmac_f32_e32 v50, v40, v51
	v_fma_f32 v51, v41, v51, -v18
	ds_load_2addr_b64 v[40:43], v14 offset0:8 offset1:208
	v_mul_f32_e32 v17, v65, v56
	s_wait_loadcnt 0x2
	v_mul_f32_e32 v56, v35, v60
	global_wb scope:SCOPE_SE
	s_wait_loadcnt_dscnt 0x0
	s_barrier_signal -1
	s_barrier_wait -1
	v_fma_f32 v55, v66, v55, -v17
	v_mul_f32_e32 v17, v45, v54
	v_mul_f32_e32 v18, v44, v54
	;; [unrolled: 1-line block ×3, first 2 shown]
	v_fmac_f32_e32 v56, v34, v59
	global_inv scope:SCOPE_SE
	v_fmac_f32_e32 v17, v44, v53
	v_fma_f32 v18, v45, v53, -v18
	v_dual_fmac_f32 v54, v77, v57 :: v_dual_mul_f32 v45, v38, v62
	v_mul_f32_e32 v44, v43, v82
	s_delay_alu instid0(VALU_DEP_1) | instskip(SKIP_1) | instid1(VALU_DEP_1)
	v_fmac_f32_e32 v44, v42, v81
	v_mul_f32_e32 v31, v42, v82
	v_fma_f32 v42, v43, v81, -v31
	v_mul_f32_e32 v31, v77, v58
	v_dual_mul_f32 v43, v34, v60 :: v_dual_mul_f32 v58, v39, v62
	v_add_f32_e32 v34, v67, v46
	v_mul_f32_e32 v60, v88, v84
	s_delay_alu instid0(VALU_DEP_4) | instskip(NEXT) | instid1(VALU_DEP_4)
	v_fma_f32 v33, v78, v57, -v31
	v_fma_f32 v57, v35, v59, -v43
	v_dual_mul_f32 v35, v40, v64 :: v_dual_fmac_f32 v58, v38, v61
	v_fma_f32 v31, v39, v61, -v45
	v_dual_mul_f32 v59, v41, v64 :: v_dual_add_f32 v38, v36, v90
	s_delay_alu instid0(VALU_DEP_3)
	v_fma_f32 v61, v41, v63, -v35
	v_add_f32_e32 v41, v90, v50
	v_fma_f32 v52, -0.5, v34, v36
	v_sub_f32_e32 v34, v85, v51
	v_add_f32_e32 v35, v38, v67
	v_sub_f32_e32 v38, v71, v47
	v_fma_f32 v36, -0.5, v41, v36
	v_fmac_f32_e32 v59, v40, v63
	v_fmamk_f32 v53, v34, 0xbf737871, v52
	v_dual_sub_f32 v40, v50, v46 :: v_dual_mul_f32 v43, v87, v84
	s_delay_alu instid0(VALU_DEP_4) | instskip(SKIP_4) | instid1(VALU_DEP_4)
	v_fmamk_f32 v64, v38, 0x3f737871, v36
	v_fmac_f32_e32 v36, 0xbf737871, v38
	v_add_f32_e32 v35, v35, v46
	v_dual_fmac_f32 v52, 0x3f737871, v34 :: v_dual_add_f32 v41, v37, v85
	v_fmac_f32_e32 v53, 0xbf167918, v38
	v_dual_fmac_f32 v36, 0x3f167918, v34 :: v_dual_sub_f32 v39, v90, v67
	v_fma_f32 v62, v88, v83, -v43
	v_add_f32_e32 v63, v35, v50
	v_sub_f32_e32 v35, v67, v90
	s_delay_alu instid0(VALU_DEP_4) | instskip(SKIP_3) | instid1(VALU_DEP_4)
	v_dual_fmac_f32 v52, 0x3f167918, v38 :: v_dual_add_f32 v39, v39, v40
	v_dual_sub_f32 v40, v46, v50 :: v_dual_add_f32 v43, v71, v47
	v_add_f32_e32 v38, v41, v71
	v_fmac_f32_e32 v64, 0xbf167918, v34
	v_fmac_f32_e32 v53, 0x3e9e377a, v39
	s_delay_alu instid0(VALU_DEP_4)
	v_add_f32_e32 v35, v35, v40
	v_fma_f32 v65, -0.5, v43, v37
	v_sub_f32_e32 v40, v90, v50
	v_add_f32_e32 v34, v38, v47
	v_add_f32_e32 v38, v85, v51
	v_sub_f32_e32 v41, v85, v71
	v_sub_f32_e32 v43, v51, v47
	v_fmac_f32_e32 v52, 0x3e9e377a, v39
	v_fmac_f32_e32 v64, 0x3e9e377a, v35
	v_dual_fmamk_f32 v66, v40, 0x3f737871, v65 :: v_dual_sub_f32 v39, v67, v46
	v_dual_fmac_f32 v36, 0x3e9e377a, v35 :: v_dual_fmac_f32 v37, -0.5, v38
	v_add_f32_e32 v67, v34, v51
	v_dual_add_f32 v34, v41, v43 :: v_dual_fmac_f32 v65, 0xbf737871, v40
	v_sub_f32_e32 v35, v71, v85
	v_dual_sub_f32 v38, v47, v51 :: v_dual_add_f32 v41, v89, v92
	v_fmac_f32_e32 v66, 0x3f167918, v39
	v_fmamk_f32 v75, v39, 0xbf737871, v37
	v_fmac_f32_e32 v65, 0xbf167918, v39
	s_delay_alu instid0(VALU_DEP_4) | instskip(SKIP_4) | instid1(VALU_DEP_4)
	v_add_f32_e32 v35, v35, v38
	v_dual_fmac_f32 v37, 0x3f737871, v39 :: v_dual_add_f32 v38, v41, v72
	v_dual_add_f32 v39, v72, v73 :: v_dual_fmac_f32 v66, 0x3e9e377a, v34
	v_fmac_f32_e32 v75, 0x3f167918, v40
	v_fmac_f32_e32 v65, 0x3e9e377a, v34
	v_dual_fmac_f32 v37, 0xbf167918, v40 :: v_dual_add_f32 v34, v38, v73
	s_delay_alu instid0(VALU_DEP_4) | instskip(SKIP_2) | instid1(VALU_DEP_4)
	v_fma_f32 v39, -0.5, v39, v89
	v_add_f32_e32 v38, v92, v44
	v_dual_sub_f32 v40, v68, v42 :: v_dual_fmac_f32 v75, 0x3e9e377a, v35
	v_dual_fmac_f32 v37, 0x3e9e377a, v35 :: v_dual_add_f32 v46, v34, v44
	s_delay_alu instid0(VALU_DEP_3) | instskip(NEXT) | instid1(VALU_DEP_3)
	v_dual_sub_f32 v34, v48, v49 :: v_dual_fmac_f32 v89, -0.5, v38
	v_fmamk_f32 v35, v40, 0xbf737871, v39
	v_sub_f32_e32 v38, v92, v72
	v_sub_f32_e32 v41, v44, v73
	v_fmac_f32_e32 v39, 0x3f737871, v40
	v_fmamk_f32 v43, v34, 0x3f737871, v89
	v_sub_f32_e32 v45, v72, v92
	v_sub_f32_e32 v47, v73, v44
	v_dual_fmac_f32 v35, 0xbf167918, v34 :: v_dual_add_f32 v38, v38, v41
	v_fmac_f32_e32 v39, 0x3f167918, v34
	v_dual_fmac_f32 v89, 0xbf737871, v34 :: v_dual_add_f32 v34, v48, v49
	v_dual_fmac_f32 v60, v87, v83 :: v_dual_fmac_f32 v43, 0xbf167918, v40
	v_add_f32_e32 v41, v45, v47
	v_fmac_f32_e32 v35, 0x3e9e377a, v38
	v_fmac_f32_e32 v39, 0x3e9e377a, v38
	v_dual_fmac_f32 v89, 0x3f167918, v40 :: v_dual_add_f32 v38, v68, v42
	v_fma_f32 v45, -0.5, v34, v91
	v_dual_sub_f32 v34, v92, v44 :: v_dual_fmac_f32 v43, 0x3e9e377a, v41
	v_add_f32_e32 v40, v91, v68
	s_delay_alu instid0(VALU_DEP_4) | instskip(SKIP_1) | instid1(VALU_DEP_4)
	v_dual_sub_f32 v44, v72, v73 :: v_dual_fmac_f32 v91, -0.5, v38
	v_fmac_f32_e32 v89, 0x3e9e377a, v41
	v_dual_fmamk_f32 v41, v34, 0x3f737871, v45 :: v_dual_sub_f32 v38, v68, v48
	s_delay_alu instid0(VALU_DEP_3) | instskip(SKIP_2) | instid1(VALU_DEP_3)
	v_dual_sub_f32 v47, v42, v49 :: v_dual_fmamk_f32 v50, v44, 0xbf737871, v91
	v_dual_sub_f32 v51, v48, v68 :: v_dual_sub_f32 v68, v49, v42
	v_fmac_f32_e32 v91, 0x3f737871, v44
	v_dual_fmac_f32 v41, 0x3f167918, v44 :: v_dual_add_f32 v38, v38, v47
	s_delay_alu instid0(VALU_DEP_3) | instskip(NEXT) | instid1(VALU_DEP_3)
	v_dual_fmac_f32 v50, 0x3f167918, v34 :: v_dual_add_f32 v47, v51, v68
	v_fmac_f32_e32 v91, 0xbf167918, v34
	v_fmac_f32_e32 v45, 0xbf737871, v34
	s_delay_alu instid0(VALU_DEP_4) | instskip(NEXT) | instid1(VALU_DEP_4)
	v_dual_fmac_f32 v41, 0x3e9e377a, v38 :: v_dual_add_f32 v34, v40, v48
	v_fmac_f32_e32 v50, 0x3e9e377a, v47
	s_delay_alu instid0(VALU_DEP_4) | instskip(NEXT) | instid1(VALU_DEP_4)
	v_fmac_f32_e32 v91, 0x3e9e377a, v47
	v_fmac_f32_e32 v45, 0xbf167918, v44
	s_delay_alu instid0(VALU_DEP_4) | instskip(NEXT) | instid1(VALU_DEP_4)
	v_mul_f32_e32 v47, 0xbf167918, v41
	v_dual_add_f32 v34, v34, v49 :: v_dual_mul_f32 v49, 0xbf737871, v50
	v_mul_f32_e32 v72, 0x3f4f1bbd, v41
	s_delay_alu instid0(VALU_DEP_4) | instskip(NEXT) | instid1(VALU_DEP_3)
	v_fmac_f32_e32 v45, 0x3e9e377a, v38
	v_dual_fmac_f32 v47, 0x3f4f1bbd, v35 :: v_dual_add_f32 v68, v34, v42
	s_delay_alu instid0(VALU_DEP_4) | instskip(NEXT) | instid1(VALU_DEP_2)
	v_dual_fmac_f32 v49, 0x3e9e377a, v43 :: v_dual_add_f32 v34, v63, v46
	v_dual_mul_f32 v71, 0xbf167918, v45 :: v_dual_add_f32 v38, v53, v47
	v_sub_f32_e32 v48, v53, v47
	s_delay_alu instid0(VALU_DEP_3) | instskip(NEXT) | instid1(VALU_DEP_3)
	v_dual_add_f32 v47, v69, v56 :: v_dual_add_f32 v40, v64, v49
	v_fmac_f32_e32 v71, 0xbf4f1bbd, v39
	v_mul_f32_e32 v73, 0x3e9e377a, v50
	v_mul_f32_e32 v76, 0xbe9e377a, v91
	;; [unrolled: 1-line block ×3, first 2 shown]
	v_fmac_f32_e32 v72, 0x3f167918, v35
	v_sub_f32_e32 v46, v63, v46
	v_sub_f32_e32 v50, v64, v49
	v_fma_f32 v63, -0.5, v47, v2
	v_sub_f32_e32 v64, v55, v61
	v_add_f32_e32 v44, v52, v71
	v_fmac_f32_e32 v76, 0x3f737871, v89
	v_fmac_f32_e32 v77, 0x3f167918, v39
	v_add_f32_e32 v35, v67, v68
	v_dual_add_f32 v39, v66, v72 :: v_dual_sub_f32 v52, v52, v71
	v_sub_f32_e32 v47, v67, v68
	v_dual_sub_f32 v49, v66, v72 :: v_dual_fmamk_f32 v66, v64, 0xbf737871, v63
	v_sub_f32_e32 v67, v70, v57
	v_dual_sub_f32 v68, v74, v69 :: v_dual_sub_f32 v71, v59, v56
	v_fmac_f32_e32 v63, 0x3f737871, v64
	v_mul_f32_e32 v51, 0xbf737871, v91
	v_add_f32_e32 v53, v2, v74
	v_fmac_f32_e32 v73, 0x3f737871, v43
	v_add_f32_e32 v68, v68, v71
	v_fmac_f32_e32 v63, 0x3f167918, v67
	v_dual_fmac_f32 v51, 0xbe9e377a, v89 :: v_dual_add_f32 v72, v74, v59
	s_delay_alu instid0(VALU_DEP_4) | instskip(NEXT) | instid1(VALU_DEP_3)
	v_dual_add_f32 v41, v75, v73 :: v_dual_fmac_f32 v66, 0xbf167918, v67
	v_fmac_f32_e32 v63, 0x3e9e377a, v68
	s_delay_alu instid0(VALU_DEP_3) | instskip(SKIP_2) | instid1(VALU_DEP_3)
	v_dual_add_f32 v53, v53, v69 :: v_dual_add_f32 v42, v36, v51
	v_dual_sub_f32 v36, v36, v51 :: v_dual_sub_f32 v51, v75, v73
	v_fma_f32 v2, -0.5, v72, v2
	v_add_f32_e32 v73, v53, v56
	v_sub_f32_e32 v53, v65, v77
	v_add_f32_e32 v45, v65, v77
	s_delay_alu instid0(VALU_DEP_4) | instskip(NEXT) | instid1(VALU_DEP_4)
	v_dual_sub_f32 v72, v69, v74 :: v_dual_fmamk_f32 v71, v67, 0x3f737871, v2
	v_add_f32_e32 v65, v73, v59
	v_sub_f32_e32 v73, v56, v59
	v_fmac_f32_e32 v2, 0xbf737871, v67
	v_dual_add_f32 v75, v3, v55 :: v_dual_fmac_f32 v66, 0x3e9e377a, v68
	s_delay_alu instid0(VALU_DEP_3) | instskip(NEXT) | instid1(VALU_DEP_2)
	v_dual_fmac_f32 v71, 0xbf167918, v64 :: v_dual_add_f32 v72, v72, v73
	v_dual_fmac_f32 v2, 0x3f167918, v64 :: v_dual_add_f32 v67, v75, v70
	v_dual_sub_f32 v59, v74, v59 :: v_dual_add_f32 v68, v55, v61
	s_delay_alu instid0(VALU_DEP_3) | instskip(NEXT) | instid1(VALU_DEP_3)
	v_fmac_f32_e32 v71, 0x3e9e377a, v72
	v_fmac_f32_e32 v2, 0x3e9e377a, v72
	v_add_f32_e32 v43, v37, v76
	v_dual_sub_f32 v37, v37, v76 :: v_dual_add_f32 v76, v70, v57
	v_add_f32_e32 v64, v67, v57
	v_dual_sub_f32 v56, v69, v56 :: v_dual_sub_f32 v69, v55, v70
	v_sub_f32_e32 v74, v61, v57
	s_delay_alu instid0(VALU_DEP_4) | instskip(NEXT) | instid1(VALU_DEP_4)
	v_fma_f32 v73, -0.5, v76, v3
	v_dual_fmac_f32 v3, -0.5, v68 :: v_dual_add_f32 v72, v64, v61
	v_sub_f32_e32 v55, v70, v55
	v_sub_f32_e32 v57, v57, v61
	s_delay_alu instid0(VALU_DEP_4) | instskip(SKIP_3) | instid1(VALU_DEP_4)
	v_fmamk_f32 v67, v59, 0x3f737871, v73
	v_fmac_f32_e32 v73, 0xbf737871, v59
	v_add_f32_e32 v61, v17, v25
	v_dual_add_f32 v64, v69, v74 :: v_dual_fmamk_f32 v69, v56, 0xbf737871, v3
	v_fmac_f32_e32 v67, 0x3f167918, v56
	s_delay_alu instid0(VALU_DEP_4)
	v_fmac_f32_e32 v73, 0xbf167918, v56
	v_add_f32_e32 v55, v55, v57
	v_dual_fmac_f32 v3, 0x3f737871, v56 :: v_dual_add_f32 v56, v61, v54
	v_add_f32_e32 v57, v54, v58
	v_fmac_f32_e32 v69, 0x3f167918, v59
	v_sub_f32_e32 v61, v19, v62
	s_delay_alu instid0(VALU_DEP_4) | instskip(NEXT) | instid1(VALU_DEP_4)
	v_dual_fmac_f32 v3, 0xbf167918, v59 :: v_dual_add_f32 v56, v56, v58
	v_fma_f32 v57, -0.5, v57, v17
	v_add_f32_e32 v59, v25, v60
	v_fmac_f32_e32 v67, 0x3e9e377a, v64
	v_fmac_f32_e32 v73, 0x3e9e377a, v64
	;; [unrolled: 1-line block ×3, first 2 shown]
	v_dual_fmac_f32 v3, 0x3e9e377a, v55 :: v_dual_add_f32 v64, v56, v60
	v_sub_f32_e32 v55, v33, v31
	v_fmac_f32_e32 v17, -0.5, v59
	v_fmamk_f32 v59, v61, 0xbf737871, v57
	v_sub_f32_e32 v56, v25, v54
	v_dual_sub_f32 v68, v60, v58 :: v_dual_fmac_f32 v57, 0x3f737871, v61
	s_delay_alu instid0(VALU_DEP_4) | instskip(NEXT) | instid1(VALU_DEP_4)
	v_fmamk_f32 v70, v55, 0x3f737871, v17
	v_dual_fmac_f32 v59, 0xbf167918, v55 :: v_dual_sub_f32 v74, v54, v25
	s_delay_alu instid0(VALU_DEP_3) | instskip(SKIP_3) | instid1(VALU_DEP_4)
	v_dual_add_f32 v56, v56, v68 :: v_dual_fmac_f32 v57, 0x3f167918, v55
	v_sub_f32_e32 v75, v58, v60
	v_fmac_f32_e32 v17, 0xbf737871, v55
	v_add_f32_e32 v55, v33, v31
	v_fmac_f32_e32 v59, 0x3e9e377a, v56
	v_dual_fmac_f32 v57, 0x3e9e377a, v56 :: v_dual_add_f32 v56, v19, v62
	v_fmac_f32_e32 v70, 0xbf167918, v61
	v_dual_add_f32 v68, v74, v75 :: v_dual_fmac_f32 v17, 0x3f167918, v61
	v_fma_f32 v55, -0.5, v55, v18
	v_dual_sub_f32 v25, v25, v60 :: v_dual_add_f32 v60, v18, v19
	v_sub_f32_e32 v54, v54, v58
	v_fmac_f32_e32 v18, -0.5, v56
	v_fmac_f32_e32 v70, 0x3e9e377a, v68
	v_dual_fmac_f32 v17, 0x3e9e377a, v68 :: v_dual_sub_f32 v56, v19, v33
	s_delay_alu instid0(VALU_DEP_3) | instskip(SKIP_3) | instid1(VALU_DEP_2)
	v_dual_sub_f32 v19, v33, v19 :: v_dual_fmamk_f32 v68, v54, 0xbf737871, v18
	v_sub_f32_e32 v74, v31, v62
	v_dual_fmac_f32 v18, 0x3f737871, v54 :: v_dual_fmamk_f32 v61, v25, 0x3f737871, v55
	v_dual_sub_f32 v58, v62, v31 :: v_dual_fmac_f32 v55, 0xbf737871, v25
	v_dual_add_f32 v19, v19, v74 :: v_dual_fmac_f32 v18, 0xbf167918, v25
	s_delay_alu instid0(VALU_DEP_3) | instskip(NEXT) | instid1(VALU_DEP_3)
	v_fmac_f32_e32 v61, 0x3f167918, v54
	v_add_f32_e32 v56, v56, v58
	v_fmac_f32_e32 v68, 0x3f167918, v25
	s_delay_alu instid0(VALU_DEP_4) | instskip(SKIP_1) | instid1(VALU_DEP_3)
	v_dual_add_f32 v25, v60, v33 :: v_dual_fmac_f32 v18, 0x3e9e377a, v19
	v_fmac_f32_e32 v55, 0xbf167918, v54
	v_dual_fmac_f32 v61, 0x3e9e377a, v56 :: v_dual_fmac_f32 v68, 0x3e9e377a, v19
	s_delay_alu instid0(VALU_DEP_3) | instskip(NEXT) | instid1(VALU_DEP_4)
	v_add_f32_e32 v19, v25, v31
	v_mul_f32_e32 v33, 0xbf737871, v18
	v_mul_f32_e32 v78, 0xbe9e377a, v18
	v_fmac_f32_e32 v55, 0x3e9e377a, v56
	v_mul_f32_e32 v25, 0xbf167918, v61
	v_mul_f32_e32 v31, 0xbf737871, v68
	v_fmac_f32_e32 v33, 0xbe9e377a, v17
	v_fmac_f32_e32 v78, 0x3f737871, v17
	s_wait_alu 0xf1ff
	v_cndmask_b32_e64 v17, 0, 0x1f40, s0
	v_mul_f32_e32 v76, 0x3f4f1bbd, v61
	v_mul_f32_e32 v75, 0xbf167918, v55
	;; [unrolled: 1-line block ×4, first 2 shown]
	v_add3_u32 v16, 0, v17, v16
	v_dual_fmac_f32 v25, 0x3f4f1bbd, v59 :: v_dual_add_f32 v74, v19, v62
	v_fmac_f32_e32 v31, 0x3e9e377a, v70
	v_fmac_f32_e32 v76, 0x3f167918, v59
	;; [unrolled: 1-line block ×5, first 2 shown]
	v_add_nc_u32_e32 v17, 0x400, v16
	v_add_f32_e32 v54, v65, v64
	v_add_f32_e32 v56, v66, v25
	v_sub_f32_e32 v62, v65, v64
	v_dual_sub_f32 v64, v66, v25 :: v_dual_add_nc_u32 v25, 0x800, v16
	v_dual_add_f32 v58, v71, v31 :: v_dual_add_f32 v55, v72, v74
	v_add_f32_e32 v57, v67, v76
	v_dual_sub_f32 v66, v71, v31 :: v_dual_add_nc_u32 v31, 0x1000, v16
	ds_store_2addr_b64 v16, v[34:35], v[38:39] offset1:100
	v_add_nc_u32_e32 v16, 0x1800, v16
	v_add_f32_e32 v60, v2, v33
	v_dual_add_f32 v18, v63, v75 :: v_dual_add_f32 v59, v69, v77
	v_add_f32_e32 v61, v3, v78
	v_add_f32_e32 v19, v73, v79
	v_dual_sub_f32 v68, v63, v75 :: v_dual_sub_f32 v63, v72, v74
	ds_store_2addr_b64 v17, v[40:41], v[42:43] offset0:72 offset1:172
	ds_store_2addr_b64 v25, v[44:45], v[46:47] offset0:144 offset1:244
	;; [unrolled: 1-line block ×4, first 2 shown]
	v_add_nc_u32_e32 v16, 0x800, v0
	v_sub_f32_e32 v65, v67, v76
	v_sub_f32_e32 v67, v69, v77
	v_dual_sub_f32 v2, v2, v33 :: v_dual_add_nc_u32 v17, 0x1000, v0
	v_sub_f32_e32 v3, v3, v78
	v_sub_f32_e32 v69, v73, v79
	ds_store_2addr_b64 v0, v[54:55], v[56:57] offset1:100
	v_add_nc_u32_e32 v0, 0x1800, v0
	ds_store_2addr_b64 v15, v[58:59], v[60:61] offset0:72 offset1:172
	ds_store_2addr_b64 v16, v[18:19], v[62:63] offset0:144 offset1:244
	;; [unrolled: 1-line block ×4, first 2 shown]
	v_mul_i32_i24_e32 v0, 3, v24
	v_mul_u32_u24_e32 v15, 3, v22
	global_wb scope:SCOPE_SE
	s_wait_dscnt 0x0
	s_barrier_signal -1
	s_barrier_wait -1
	v_lshlrev_b64_e32 v[2:3], 3, v[0:1]
	v_mul_i32_i24_e32 v0, 3, v30
	v_lshlrev_b32_e32 v19, 3, v15
	global_inv scope:SCOPE_SE
	v_lshlrev_b64_e32 v[37:38], 3, v[0:1]
	v_add_co_u32 v2, s0, s8, v2
	s_wait_alu 0xf1ff
	v_add_co_ci_u32_e64 v3, s0, s9, v3, s0
	v_mul_i32_i24_e32 v0, 3, v29
	s_delay_alu instid0(VALU_DEP_4)
	v_add_co_u32 v41, s0, s8, v37
	s_clause 0x2
	global_load_b128 v[15:18], v19, s[8:9] offset:7920
	global_load_b64 v[73:74], v19, s[8:9] offset:7936
	global_load_b128 v[33:36], v[2:3], off offset:7920
	s_wait_alu 0xf1ff
	v_add_co_ci_u32_e64 v42, s0, s9, v38, s0
	v_lshlrev_b64_e32 v[43:44], 3, v[0:1]
	v_mul_i32_i24_e32 v0, 3, v28
	s_clause 0x2
	global_load_b128 v[37:40], v[41:42], off offset:7920
	global_load_b64 v[2:3], v[2:3], off offset:7936
	global_load_b64 v[75:76], v[41:42], off offset:7936
	v_lshlrev_b64_e32 v[47:48], 3, v[0:1]
	v_add_co_u32 v45, s0, s8, v43
	s_wait_alu 0xf1ff
	v_add_co_ci_u32_e64 v46, s0, s9, v44, s0
	s_clause 0x1
	global_load_b128 v[41:44], v[45:46], off offset:7920
	global_load_b64 v[77:78], v[45:46], off offset:7936
	v_add_co_u32 v49, s0, s8, v47
	s_wait_alu 0xf1ff
	v_add_co_ci_u32_e64 v50, s0, s9, v48, s0
	s_clause 0x1
	global_load_b128 v[45:48], v[49:50], off offset:7920
	global_load_b64 v[79:80], v[49:50], off offset:7936
	ds_load_2addr_b64 v[49:52], v10 offset0:40 offset1:240
	ds_load_2addr_b64 v[53:56], v12 offset0:8 offset1:208
	;; [unrolled: 1-line block ×3, first 2 shown]
	ds_load_b64 v[81:82], v32
	v_lshl_add_u32 v10, v29, 3, 0
	ds_load_2addr_b64 v[61:64], v11 offset0:24 offset1:224
	ds_load_2addr_b64 v[65:68], v5 offset0:24 offset1:224
	;; [unrolled: 1-line block ×3, first 2 shown]
	ds_load_b64 v[83:84], v4
	ds_load_b64 v[85:86], v10
	ds_load_2addr_b64 v[69:72], v9 offset0:40 offset1:240
	ds_load_b64 v[87:88], v6
	s_wait_loadcnt_dscnt 0x90a
	v_mul_f32_e32 v0, v16, v50
	v_mul_f32_e32 v5, v16, v49
	s_wait_loadcnt 0x7
	v_mul_f32_e32 v31, v34, v52
	v_mul_f32_e32 v34, v34, v51
	s_wait_dscnt 0x9
	v_dual_mul_f32 v9, v18, v56 :: v_dual_fmac_f32 v0, v15, v49
	v_mul_f32_e32 v16, v18, v55
	v_fma_f32 v5, v15, v50, -v5
	s_wait_dscnt 0x8
	v_mul_f32_e32 v15, v74, v57
	v_fmac_f32_e32 v31, v33, v51
	v_fma_f32 v33, v33, v52, -v34
	s_wait_dscnt 0x6
	v_mul_f32_e32 v34, v62, v36
	v_mul_f32_e32 v36, v61, v36
	s_wait_loadcnt 0x5
	v_mul_f32_e32 v50, v60, v3
	v_mul_f32_e32 v3, v59, v3
	v_fmac_f32_e32 v9, v17, v55
	v_fma_f32 v25, v17, v56, -v16
	v_fma_f32 v49, v73, v58, -v15
	ds_load_b64 v[15:16], v7
	ds_load_b64 v[17:18], v32 offset:30400
	s_wait_dscnt 0x7
	v_dual_mul_f32 v51, v66, v38 :: v_dual_fmac_f32 v34, v61, v35
	v_fma_f32 v35, v62, v35, -v36
	v_fmac_f32_e32 v50, v59, v2
	v_fma_f32 v3, v60, v2, -v3
	v_mul_f32_e32 v2, v65, v38
	v_mul_f32_e32 v38, v64, v40
	v_mul_f32_e32 v36, v63, v40
	s_wait_loadcnt_dscnt 0x406
	v_dual_mul_f32 v40, v12, v76 :: v_dual_mul_f32 v19, v74, v58
	v_mul_f32_e32 v52, v11, v76
	v_fma_f32 v55, v66, v37, -v2
	s_wait_loadcnt 0x3
	v_mul_f32_e32 v56, v68, v42
	v_fmac_f32_e32 v40, v11, v75
	v_mul_f32_e32 v2, v67, v42
	s_wait_dscnt 0x3
	v_mul_f32_e32 v42, v70, v44
	v_mul_f32_e32 v11, v69, v44
	v_fmac_f32_e32 v19, v73, v57
	v_fma_f32 v52, v12, v75, -v52
	s_wait_loadcnt 0x1
	v_mul_f32_e32 v58, v54, v46
	v_fmac_f32_e32 v42, v69, v43
	v_fma_f32 v43, v70, v43, -v11
	v_dual_mul_f32 v11, v53, v46 :: v_dual_mul_f32 v12, v71, v48
	v_mul_f32_e32 v44, v14, v78
	v_fma_f32 v57, v68, v41, -v2
	v_mul_f32_e32 v2, v13, v78
	v_fmac_f32_e32 v58, v53, v45
	v_fma_f32 v53, v54, v45, -v11
	v_fma_f32 v54, v72, v47, -v12
	v_dual_sub_f32 v9, v81, v9 :: v_dual_sub_f32 v12, v0, v19
	v_fmac_f32_e32 v44, v13, v77
	v_fma_f32 v46, v14, v77, -v2
	s_wait_loadcnt_dscnt 0x0
	v_dual_mul_f32 v2, v17, v80 :: v_dual_sub_f32 v19, v82, v25
	v_fma_f32 v11, v81, 2.0, -v9
	v_sub_f32_e32 v13, v5, v49
	v_fma_f32 v0, v0, 2.0, -v12
	v_fmac_f32_e32 v38, v63, v39
	v_fma_f32 v39, v64, v39, -v36
	v_mul_f32_e32 v60, v18, v80
	v_fma_f32 v25, v18, v79, -v2
	v_fma_f32 v36, v82, 2.0, -v19
	v_fma_f32 v5, v5, 2.0, -v13
	v_sub_f32_e32 v2, v11, v0
	v_sub_f32_e32 v0, v83, v34
	;; [unrolled: 1-line block ×3, first 2 shown]
	v_fmac_f32_e32 v51, v65, v37
	v_dual_fmac_f32 v56, v67, v41 :: v_dual_mul_f32 v59, v72, v48
	v_fmac_f32_e32 v60, v17, v79
	v_sub_f32_e32 v41, v84, v35
	v_sub_f32_e32 v37, v33, v3
	;; [unrolled: 1-line block ×3, first 2 shown]
	v_fma_f32 v5, v83, 2.0, -v0
	v_fma_f32 v17, v31, 2.0, -v45
	v_fmac_f32_e32 v59, v71, v47
	v_fma_f32 v47, v84, 2.0, -v41
	v_fma_f32 v18, v33, 2.0, -v37
	v_dual_add_f32 v13, v9, v13 :: v_dual_sub_f32 v14, v19, v12
	v_sub_f32_e32 v17, v5, v17
	s_delay_alu instid0(VALU_DEP_3) | instskip(NEXT) | instid1(VALU_DEP_3)
	v_dual_add_f32 v37, v0, v37 :: v_dual_sub_f32 v18, v47, v18
	v_fma_f32 v33, v9, 2.0, -v13
	s_delay_alu instid0(VALU_DEP_4) | instskip(NEXT) | instid1(VALU_DEP_4)
	v_fma_f32 v34, v19, 2.0, -v14
	v_fma_f32 v35, v5, 2.0, -v17
	v_sub_f32_e32 v5, v15, v38
	v_sub_f32_e32 v9, v51, v40
	;; [unrolled: 1-line block ×4, first 2 shown]
	v_fma_f32 v12, v36, 2.0, -v3
	v_fma_f32 v36, v47, 2.0, -v18
	;; [unrolled: 1-line block ×7, first 2 shown]
	v_sub_f32_e32 v0, v85, v42
	v_dual_sub_f32 v52, v56, v44 :: v_dual_sub_f32 v61, v86, v43
	v_sub_f32_e32 v50, v57, v46
	v_dual_sub_f32 v38, v41, v45 :: v_dual_sub_f32 v39, v47, v39
	v_sub_f32_e32 v40, v48, v40
	v_fma_f32 v49, v85, 2.0, -v0
	v_fma_f32 v42, v56, 2.0, -v52
	v_dual_add_f32 v43, v5, v31 :: v_dual_sub_f32 v44, v19, v9
	v_fma_f32 v9, v86, 2.0, -v61
	v_fma_f32 v31, v57, 2.0, -v50
	v_fma_f32 v16, v41, 2.0, -v38
	v_fma_f32 v41, v47, 2.0, -v39
	v_sub_f32_e32 v45, v49, v42
	v_fma_f32 v42, v48, 2.0, -v40
	v_fma_f32 v47, v5, 2.0, -v43
	v_fma_f32 v48, v19, 2.0, -v44
	v_sub_f32_e32 v46, v9, v31
	v_sub_f32_e32 v5, v87, v59
	;; [unrolled: 1-line block ×5, first 2 shown]
	v_fma_f32 v11, v11, 2.0, -v2
	v_fma_f32 v59, v87, 2.0, -v5
	;; [unrolled: 1-line block ×5, first 2 shown]
	v_dual_add_f32 v51, v0, v50 :: v_dual_sub_f32 v52, v61, v52
	v_add_f32_e32 v57, v5, v25
	s_delay_alu instid0(VALU_DEP_3)
	v_dual_sub_f32 v55, v59, v54 :: v_dual_sub_f32 v56, v60, v56
	v_sub_f32_e32 v58, v19, v31
	v_fma_f32 v49, v49, 2.0, -v45
	v_fma_f32 v50, v9, 2.0, -v46
	;; [unrolled: 1-line block ×8, first 2 shown]
	global_wb scope:SCOPE_SE
	s_barrier_signal -1
	s_barrier_wait -1
	global_inv scope:SCOPE_SE
	ds_store_b64 v32, v[11:12]
	ds_store_b64 v32, v[33:34] offset:8000
	ds_store_b64 v32, v[2:3] offset:16000
	ds_store_b64 v32, v[13:14] offset:24000
	ds_store_b64 v4, v[35:36]
	ds_store_b64 v4, v[15:16] offset:8000
	ds_store_b64 v4, v[17:18] offset:16000
	ds_store_b64 v4, v[37:38] offset:24000
	;; [unrolled: 4-line block ×5, first 2 shown]
	global_wb scope:SCOPE_SE
	s_wait_dscnt 0x0
	s_barrier_signal -1
	s_barrier_wait -1
	global_inv scope:SCOPE_SE
	ds_load_b64 v[4:5], v32
	v_sub_nc_u32_e32 v9, 0, v23
                                        ; implicit-def: $vgpr0
                                        ; implicit-def: $vgpr11
                                        ; implicit-def: $vgpr12
                                        ; implicit-def: $vgpr2_vgpr3
	v_cmpx_ne_u32_e32 0, v22
	s_wait_alu 0xfffe
	s_xor_b32 s1, exec_lo, s1
	s_cbranch_execz .LBB0_15
; %bb.14:
	ds_load_b64 v[2:3], v9 offset:32000
	s_wait_dscnt 0x0
	v_dual_mov_b32 v23, v1 :: v_dual_add_f32 v12, v3, v5
	s_delay_alu instid0(VALU_DEP_1) | instskip(SKIP_2) | instid1(VALU_DEP_2)
	v_lshlrev_b64_e32 v[0:1], 3, v[22:23]
	v_dual_sub_f32 v11, v4, v2 :: v_dual_add_f32 v2, v2, v4
	v_sub_f32_e32 v3, v5, v3
	v_mul_f32_e32 v5, 0.5, v11
	s_delay_alu instid0(VALU_DEP_4)
	v_add_co_u32 v0, s0, s8, v0
	s_wait_alu 0xf1ff
	v_add_co_ci_u32_e64 v1, s0, s9, v1, s0
	v_mul_f32_e32 v3, 0.5, v3
	global_load_b64 v[0:1], v[0:1], off offset:31920
	s_wait_loadcnt 0x0
	v_dual_mul_f32 v13, 0.5, v12 :: v_dual_mul_f32 v4, v1, v5
	s_delay_alu instid0(VALU_DEP_1) | instskip(SKIP_1) | instid1(VALU_DEP_3)
	v_fma_f32 v12, v13, v1, v3
	v_fma_f32 v1, v13, v1, -v3
	v_fma_f32 v11, 0.5, v2, v4
	v_fma_f32 v2, v2, 0.5, -v4
	s_delay_alu instid0(VALU_DEP_4) | instskip(NEXT) | instid1(VALU_DEP_4)
	v_fma_f32 v12, -v0, v5, v12
	v_fma_f32 v1, -v0, v5, v1
                                        ; implicit-def: $vgpr4_vgpr5
	s_delay_alu instid0(VALU_DEP_4) | instskip(NEXT) | instid1(VALU_DEP_4)
	v_fmac_f32_e32 v11, v0, v13
	v_fma_f32 v0, -v0, v13, v2
	v_dual_mov_b32 v2, v22 :: v_dual_mov_b32 v3, v23
.LBB0_15:
	s_wait_alu 0xfffe
	s_or_saveexec_b32 s0, s1
	v_mul_i32_i24_e32 v13, 0xffffffb8, v24
	s_wait_alu 0xfffe
	s_xor_b32 exec_lo, exec_lo, s0
	s_cbranch_execz .LBB0_17
; %bb.16:
	s_wait_dscnt 0x0
	v_dual_mov_b32 v12, 0 :: v_dual_add_f32 v11, v4, v5
	v_mov_b32_e32 v2, 0
	v_dual_sub_f32 v0, v4, v5 :: v_dual_mov_b32 v3, 0
	ds_load_b32 v1, v12 offset:16004
	s_wait_dscnt 0x0
	v_xor_b32_e32 v4, 0x80000000, v1
	v_mov_b32_e32 v1, 0
	ds_store_b32 v12, v4 offset:16004
.LBB0_17:
	s_or_b32 exec_lo, exec_lo, s0
	v_dual_mov_b32 v25, 0 :: v_dual_add_nc_u32 v8, v8, v13
	v_lshlrev_b64_e32 v[2:3], 3, v[2:3]
	s_wait_dscnt 0x0
	s_delay_alu instid0(VALU_DEP_2) | instskip(SKIP_1) | instid1(VALU_DEP_1)
	v_lshlrev_b64_e32 v[4:5], 3, v[24:25]
	v_mov_b32_e32 v31, v25
	v_lshlrev_b64_e32 v[14:15], 3, v[30:31]
	v_mov_b32_e32 v30, v25
	s_delay_alu instid0(VALU_DEP_4) | instskip(SKIP_2) | instid1(VALU_DEP_4)
	v_add_co_u32 v4, s0, s8, v4
	s_wait_alu 0xf1ff
	v_add_co_ci_u32_e64 v5, s0, s9, v5, s0
	v_add_co_u32 v14, s0, s8, v14
	s_wait_alu 0xf1ff
	v_add_co_ci_u32_e64 v15, s0, s9, v15, s0
	global_load_b64 v[4:5], v[4:5], off offset:31920
	v_lshlrev_b64_e32 v[16:17], 3, v[29:30]
	v_mov_b32_e32 v29, v25
	global_load_b64 v[14:15], v[14:15], off offset:31920
	v_add_co_u32 v16, s0, s8, v16
	s_wait_alu 0xf1ff
	v_add_co_ci_u32_e64 v17, s0, s9, v17, s0
	v_lshlrev_b64_e32 v[18:19], 3, v[28:29]
	global_load_b64 v[16:17], v[16:17], off offset:31920
	v_add_co_u32 v18, s0, s8, v18
	s_wait_alu 0xf1ff
	v_add_co_ci_u32_e64 v19, s0, s9, v19, s0
	s_add_nc_u64 s[0:1], s[8:9], 0x7cb0
	s_wait_alu 0xfffe
	v_add_co_u32 v2, s0, s0, v2
	global_load_b64 v[18:19], v[18:19], off offset:31920
	s_wait_alu 0xf1ff
	v_add_co_ci_u32_e64 v3, s0, s1, v3, s0
	s_clause 0x1
	global_load_b64 v[23:24], v[2:3], off offset:8000
	global_load_b64 v[28:29], v[2:3], off offset:9600
	ds_store_2addr_b32 v32, v11, v12 offset1:1
	ds_store_b64 v9, v[0:1] offset:32000
	global_load_b64 v[0:1], v[2:3], off offset:11200
	ds_load_b64 v[11:12], v8
	ds_load_b64 v[30:31], v9 offset:30400
	s_wait_dscnt 0x0
	v_add_f32_e32 v33, v12, v31
	v_dual_sub_f32 v12, v12, v31 :: v_dual_sub_f32 v13, v11, v30
	s_delay_alu instid0(VALU_DEP_1) | instskip(NEXT) | instid1(VALU_DEP_2)
	v_dual_add_f32 v11, v11, v30 :: v_dual_mul_f32 v12, 0.5, v12
	v_mul_f32_e32 v13, 0.5, v13
	s_wait_loadcnt 0x6
	s_delay_alu instid0(VALU_DEP_1) | instskip(SKIP_1) | instid1(VALU_DEP_1)
	v_mul_f32_e32 v30, v5, v13
	v_mul_f32_e32 v31, 0.5, v33
	v_fma_f32 v33, v31, v5, v12
	v_fma_f32 v5, v31, v5, -v12
	s_delay_alu instid0(VALU_DEP_4) | instskip(SKIP_1) | instid1(VALU_DEP_2)
	v_fma_f32 v12, 0.5, v11, v30
	v_fma_f32 v11, v11, 0.5, -v30
	v_fmac_f32_e32 v12, v4, v31
	v_fma_f32 v30, -v4, v13, v33
	v_fma_f32 v13, -v4, v13, v5
	s_delay_alu instid0(VALU_DEP_4)
	v_fma_f32 v11, -v4, v31, v11
	global_load_b64 v[4:5], v[2:3], off offset:12800
	ds_store_b32 v8, v30 offset:4
	ds_store_b32 v9, v13 offset:30404
	ds_store_b32 v8, v12
	ds_store_b32 v9, v11 offset:30400
	ds_load_b64 v[11:12], v7
	ds_load_b64 v[30:31], v9 offset:28800
	global_load_b64 v[2:3], v[2:3], off offset:14400
	s_wait_dscnt 0x0
	v_dual_sub_f32 v8, v11, v30 :: v_dual_add_f32 v13, v12, v31
	v_dual_sub_f32 v12, v12, v31 :: v_dual_add_f32 v11, v11, v30
	s_delay_alu instid0(VALU_DEP_2) | instskip(NEXT) | instid1(VALU_DEP_2)
	v_dual_mul_f32 v8, 0.5, v8 :: v_dual_mul_f32 v13, 0.5, v13
	v_mul_f32_e32 v12, 0.5, v12
	s_wait_loadcnt 0x7
	s_delay_alu instid0(VALU_DEP_2) | instskip(NEXT) | instid1(VALU_DEP_2)
	v_mul_f32_e32 v30, v15, v8
	v_fma_f32 v31, v13, v15, v12
	v_fma_f32 v12, v13, v15, -v12
	s_delay_alu instid0(VALU_DEP_3) | instskip(NEXT) | instid1(VALU_DEP_2)
	v_fma_f32 v15, 0.5, v11, v30
	v_fma_f32 v12, -v14, v8, v12
	s_delay_alu instid0(VALU_DEP_2) | instskip(SKIP_2) | instid1(VALU_DEP_2)
	v_fmac_f32_e32 v15, v14, v13
	v_fma_f32 v11, v11, 0.5, -v30
	v_fma_f32 v30, -v14, v8, v31
	v_fma_f32 v11, -v14, v13, v11
	ds_store_2addr_b32 v7, v15, v30 offset1:1
	ds_store_b64 v9, v[11:12] offset:28800
	ds_load_b64 v[7:8], v10
	ds_load_b64 v[11:12], v9 offset:27200
	s_wait_dscnt 0x0
	v_dual_sub_f32 v13, v7, v11 :: v_dual_add_f32 v14, v8, v12
	v_dual_sub_f32 v8, v8, v12 :: v_dual_add_f32 v7, v7, v11
	s_delay_alu instid0(VALU_DEP_2) | instskip(NEXT) | instid1(VALU_DEP_2)
	v_dual_mul_f32 v12, 0.5, v13 :: v_dual_mul_f32 v13, 0.5, v14
	v_mul_f32_e32 v8, 0.5, v8
	s_wait_loadcnt 0x6
	s_delay_alu instid0(VALU_DEP_2) | instskip(NEXT) | instid1(VALU_DEP_2)
	v_mul_f32_e32 v11, v17, v12
	v_fma_f32 v14, v13, v17, v8
	v_fma_f32 v8, v13, v17, -v8
	s_delay_alu instid0(VALU_DEP_3) | instskip(SKIP_1) | instid1(VALU_DEP_4)
	v_fma_f32 v15, 0.5, v7, v11
	v_fma_f32 v7, v7, 0.5, -v11
	v_fma_f32 v11, -v16, v12, v14
	s_delay_alu instid0(VALU_DEP_4) | instskip(NEXT) | instid1(VALU_DEP_4)
	v_fma_f32 v8, -v16, v12, v8
	v_fmac_f32_e32 v15, v16, v13
	s_delay_alu instid0(VALU_DEP_4)
	v_fma_f32 v7, -v16, v13, v7
	ds_store_2addr_b32 v10, v15, v11 offset1:1
	ds_store_b64 v9, v[7:8] offset:27200
	ds_load_b64 v[7:8], v6
	ds_load_b64 v[10:11], v9 offset:25600
	s_wait_dscnt 0x0
	v_dual_sub_f32 v12, v7, v10 :: v_dual_add_f32 v13, v8, v11
	v_dual_sub_f32 v8, v8, v11 :: v_dual_add_f32 v7, v7, v10
	s_delay_alu instid0(VALU_DEP_2) | instskip(NEXT) | instid1(VALU_DEP_2)
	v_dual_mul_f32 v11, 0.5, v12 :: v_dual_mul_f32 v12, 0.5, v13
	v_mul_f32_e32 v8, 0.5, v8
	s_wait_loadcnt 0x5
	s_delay_alu instid0(VALU_DEP_2) | instskip(NEXT) | instid1(VALU_DEP_2)
	v_mul_f32_e32 v10, v19, v11
	v_fma_f32 v13, v12, v19, v8
	v_fma_f32 v8, v12, v19, -v8
	s_delay_alu instid0(VALU_DEP_3) | instskip(SKIP_1) | instid1(VALU_DEP_4)
	v_fma_f32 v14, 0.5, v7, v10
	v_fma_f32 v7, v7, 0.5, -v10
	v_fma_f32 v10, -v18, v11, v13
	s_delay_alu instid0(VALU_DEP_4) | instskip(NEXT) | instid1(VALU_DEP_4)
	v_fma_f32 v8, -v18, v11, v8
	v_fmac_f32_e32 v14, v18, v12
	s_delay_alu instid0(VALU_DEP_4)
	v_fma_f32 v7, -v18, v12, v7
	ds_store_2addr_b32 v6, v14, v10 offset1:1
	ds_store_b64 v9, v[7:8] offset:25600
	ds_load_b64 v[6:7], v32 offset:8000
	ds_load_b64 v[10:11], v9 offset:24000
	s_wait_dscnt 0x0
	v_sub_f32_e32 v8, v6, v10
	v_add_f32_e32 v12, v7, v11
	s_delay_alu instid0(VALU_DEP_2) | instskip(NEXT) | instid1(VALU_DEP_2)
	v_dual_sub_f32 v7, v7, v11 :: v_dual_mul_f32 v8, 0.5, v8
	v_mul_f32_e32 v11, 0.5, v12
	s_delay_alu instid0(VALU_DEP_2) | instskip(SKIP_1) | instid1(VALU_DEP_3)
	v_dual_mul_f32 v7, 0.5, v7 :: v_dual_add_f32 v6, v6, v10
	s_wait_loadcnt 0x4
	v_mul_f32_e32 v10, v24, v8
	s_delay_alu instid0(VALU_DEP_2) | instskip(SKIP_1) | instid1(VALU_DEP_3)
	v_fma_f32 v12, v11, v24, v7
	v_fma_f32 v7, v11, v24, -v7
	v_fma_f32 v13, 0.5, v6, v10
	s_delay_alu instid0(VALU_DEP_3) | instskip(NEXT) | instid1(VALU_DEP_3)
	v_fma_f32 v12, -v23, v8, v12
	v_fma_f32 v7, -v23, v8, v7
	s_delay_alu instid0(VALU_DEP_3) | instskip(SKIP_2) | instid1(VALU_DEP_2)
	v_fmac_f32_e32 v13, v23, v11
	v_fma_f32 v6, v6, 0.5, -v10
	v_add_nc_u32_e32 v10, 0x1c00, v32
	v_fma_f32 v6, -v23, v11, v6
	ds_store_2addr_b32 v10, v13, v12 offset0:208 offset1:209
	ds_store_b64 v9, v[6:7] offset:24000
	ds_load_b64 v[6:7], v32 offset:9600
	ds_load_b64 v[10:11], v9 offset:22400
	s_wait_dscnt 0x0
	v_add_f32_e32 v12, v7, v11
	v_dual_sub_f32 v8, v6, v10 :: v_dual_sub_f32 v7, v7, v11
	s_delay_alu instid0(VALU_DEP_2) | instskip(NEXT) | instid1(VALU_DEP_2)
	v_dual_add_f32 v6, v6, v10 :: v_dual_mul_f32 v11, 0.5, v12
	v_dual_mul_f32 v8, 0.5, v8 :: v_dual_mul_f32 v7, 0.5, v7
	s_wait_loadcnt 0x3
	s_delay_alu instid0(VALU_DEP_1) | instskip(NEXT) | instid1(VALU_DEP_2)
	v_mul_f32_e32 v10, v29, v8
	v_fma_f32 v12, v11, v29, v7
	v_fma_f32 v7, v11, v29, -v7
	s_delay_alu instid0(VALU_DEP_3) | instskip(SKIP_1) | instid1(VALU_DEP_2)
	v_fma_f32 v13, 0.5, v6, v10
	v_fma_f32 v6, v6, 0.5, -v10
	v_dual_fmac_f32 v13, v28, v11 :: v_dual_add_nc_u32 v10, 0x2400, v32
	v_fma_f32 v12, -v28, v8, v12
	v_fma_f32 v7, -v28, v8, v7
	s_delay_alu instid0(VALU_DEP_4)
	v_fma_f32 v6, -v28, v11, v6
	ds_store_2addr_b32 v10, v13, v12 offset0:96 offset1:97
	ds_store_b64 v9, v[6:7] offset:22400
	ds_load_b64 v[6:7], v32 offset:11200
	ds_load_b64 v[10:11], v9 offset:20800
	s_wait_dscnt 0x0
	v_add_f32_e32 v12, v7, v11
	v_dual_sub_f32 v8, v6, v10 :: v_dual_sub_f32 v7, v7, v11
	s_delay_alu instid0(VALU_DEP_2) | instskip(NEXT) | instid1(VALU_DEP_2)
	v_dual_add_f32 v6, v6, v10 :: v_dual_mul_f32 v11, 0.5, v12
	v_dual_mul_f32 v8, 0.5, v8 :: v_dual_mul_f32 v7, 0.5, v7
	s_wait_loadcnt 0x2
	s_delay_alu instid0(VALU_DEP_1) | instskip(NEXT) | instid1(VALU_DEP_2)
	v_mul_f32_e32 v10, v1, v8
	v_fma_f32 v12, v11, v1, v7
	v_fma_f32 v1, v11, v1, -v7
	s_delay_alu instid0(VALU_DEP_3)
	v_fma_f32 v7, 0.5, v6, v10
	v_fma_f32 v6, v6, 0.5, -v10
	v_add_nc_u32_e32 v10, 0x2800, v32
	v_fma_f32 v12, -v0, v8, v12
	v_fma_f32 v1, -v0, v8, v1
	v_fmac_f32_e32 v7, v0, v11
	v_fma_f32 v0, -v0, v11, v6
	ds_store_2addr_b32 v10, v7, v12 offset0:240 offset1:241
	ds_store_b64 v9, v[0:1] offset:20800
	ds_load_b64 v[0:1], v32 offset:12800
	ds_load_b64 v[6:7], v9 offset:19200
	s_wait_dscnt 0x0
	v_sub_f32_e32 v8, v0, v6
	v_add_f32_e32 v10, v1, v7
	v_dual_sub_f32 v1, v1, v7 :: v_dual_add_f32 v0, v0, v6
	s_delay_alu instid0(VALU_DEP_2) | instskip(SKIP_1) | instid1(VALU_DEP_1)
	v_dual_mul_f32 v7, 0.5, v8 :: v_dual_mul_f32 v8, 0.5, v10
	s_wait_loadcnt 0x1
	v_dual_mul_f32 v1, 0.5, v1 :: v_dual_mul_f32 v6, v5, v7
	s_delay_alu instid0(VALU_DEP_1) | instskip(SKIP_1) | instid1(VALU_DEP_3)
	v_fma_f32 v10, v8, v5, v1
	v_fma_f32 v1, v8, v5, -v1
	v_fma_f32 v5, 0.5, v0, v6
	v_fma_f32 v0, v0, 0.5, -v6
	v_add_nc_u32_e32 v6, 0x3000, v32
	v_fma_f32 v10, -v4, v7, v10
	v_fma_f32 v1, -v4, v7, v1
	v_fmac_f32_e32 v5, v4, v8
	v_fma_f32 v0, -v4, v8, v0
	ds_store_2addr_b32 v6, v5, v10 offset0:128 offset1:129
	ds_store_b64 v9, v[0:1] offset:19200
	ds_load_b64 v[0:1], v32 offset:14400
	ds_load_b64 v[4:5], v9 offset:17600
	s_wait_dscnt 0x0
	v_dual_sub_f32 v6, v0, v4 :: v_dual_add_f32 v7, v1, v5
	v_dual_sub_f32 v1, v1, v5 :: v_dual_add_f32 v0, v0, v4
	s_delay_alu instid0(VALU_DEP_2) | instskip(NEXT) | instid1(VALU_DEP_2)
	v_dual_mul_f32 v5, 0.5, v6 :: v_dual_mul_f32 v6, 0.5, v7
	v_mul_f32_e32 v1, 0.5, v1
	s_wait_loadcnt 0x0
	s_delay_alu instid0(VALU_DEP_2) | instskip(NEXT) | instid1(VALU_DEP_2)
	v_mul_f32_e32 v4, v3, v5
	v_fma_f32 v7, v6, v3, v1
	v_fma_f32 v1, v6, v3, -v1
	s_delay_alu instid0(VALU_DEP_3)
	v_fma_f32 v3, 0.5, v0, v4
	v_fma_f32 v0, v0, 0.5, -v4
	v_add_nc_u32_e32 v4, 0x3800, v32
	v_fma_f32 v7, -v2, v5, v7
	v_fma_f32 v1, -v2, v5, v1
	v_fmac_f32_e32 v3, v2, v6
	v_fma_f32 v0, -v2, v6, v0
	ds_store_2addr_b32 v4, v3, v7 offset0:16 offset1:17
	ds_store_b64 v9, v[0:1] offset:17600
	global_wb scope:SCOPE_SE
	s_wait_dscnt 0x0
	s_barrier_signal -1
	s_barrier_wait -1
	global_inv scope:SCOPE_SE
	s_and_saveexec_b32 s0, vcc_lo
	s_cbranch_execz .LBB0_20
; %bb.18:
	v_mul_lo_u32 v2, s3, v26
	v_mul_lo_u32 v3, s2, v27
	v_mad_co_u64_u32 v[0:1], null, s2, v26, 0
	v_lshl_add_u32 v26, v22, 3, 0
	v_dual_mov_b32 v23, v25 :: v_dual_add_nc_u32 v24, 0xc8, v22
	v_lshlrev_b64_e32 v[10:11], 3, v[20:21]
	s_delay_alu instid0(VALU_DEP_3) | instskip(SKIP_1) | instid1(VALU_DEP_4)
	v_add_nc_u32_e32 v6, 0xc00, v26
	v_add3_u32 v1, v1, v3, v2
	v_lshlrev_b64_e32 v[12:13], 3, v[22:23]
	ds_load_2addr_b64 v[2:5], v26 offset1:200
	v_lshlrev_b64_e32 v[14:15], 3, v[24:25]
	v_add_nc_u32_e32 v24, 0x190, v22
	v_lshlrev_b64_e32 v[0:1], 3, v[0:1]
	ds_load_2addr_b64 v[6:9], v6 offset0:16 offset1:216
	v_add_nc_u32_e32 v20, 0x1800, v26
	v_add_nc_u32_e32 v21, 0x7000, v26
	v_lshlrev_b64_e32 v[16:17], 3, v[24:25]
	v_add_nc_u32_e32 v24, 0x258, v22
	v_add_co_u32 v0, vcc_lo, s6, v0
	s_wait_alu 0xfffd
	v_add_co_ci_u32_e32 v1, vcc_lo, s7, v1, vcc_lo
	s_delay_alu instid0(VALU_DEP_2) | instskip(SKIP_1) | instid1(VALU_DEP_2)
	v_add_co_u32 v0, vcc_lo, v0, v10
	s_wait_alu 0xfffd
	v_add_co_ci_u32_e32 v1, vcc_lo, v1, v11, vcc_lo
	s_delay_alu instid0(VALU_DEP_2) | instskip(SKIP_1) | instid1(VALU_DEP_2)
	v_add_co_u32 v10, vcc_lo, v0, v12
	s_wait_alu 0xfffd
	v_add_co_ci_u32_e32 v11, vcc_lo, v1, v13, vcc_lo
	v_add_co_u32 v12, vcc_lo, v0, v14
	s_wait_alu 0xfffd
	v_add_co_ci_u32_e32 v13, vcc_lo, v1, v15, vcc_lo
	v_lshlrev_b64_e32 v[14:15], 3, v[24:25]
	v_add_co_u32 v16, vcc_lo, v0, v16
	v_add_nc_u32_e32 v24, 0x320, v22
	s_wait_alu 0xfffd
	v_add_co_ci_u32_e32 v17, vcc_lo, v1, v17, vcc_lo
	s_delay_alu instid0(VALU_DEP_4)
	v_add_co_u32 v14, vcc_lo, v0, v14
	s_wait_alu 0xfffd
	v_add_co_ci_u32_e32 v15, vcc_lo, v1, v15, vcc_lo
	v_lshlrev_b64_e32 v[18:19], 3, v[24:25]
	v_add_nc_u32_e32 v24, 0x3e8, v22
	s_wait_dscnt 0x1
	s_clause 0x1
	global_store_b64 v[10:11], v[2:3], off
	global_store_b64 v[12:13], v[4:5], off
	s_wait_dscnt 0x0
	s_clause 0x1
	global_store_b64 v[16:17], v[6:7], off
	global_store_b64 v[14:15], v[8:9], off
	v_add_nc_u32_e32 v6, 0x2400, v26
	ds_load_2addr_b64 v[2:5], v20 offset0:32 offset1:232
	v_add_nc_u32_e32 v20, 0x3200, v26
	v_lshlrev_b64_e32 v[10:11], 3, v[24:25]
	v_add_nc_u32_e32 v24, 0x4b0, v22
	ds_load_2addr_b64 v[6:9], v6 offset0:48 offset1:248
	v_add_co_u32 v12, vcc_lo, v0, v18
	s_wait_alu 0xfffd
	v_add_co_ci_u32_e32 v13, vcc_lo, v1, v19, vcc_lo
	v_lshlrev_b64_e32 v[14:15], 3, v[24:25]
	v_add_nc_u32_e32 v24, 0x578, v22
	v_add_co_u32 v10, vcc_lo, v0, v10
	s_wait_alu 0xfffd
	v_add_co_ci_u32_e32 v11, vcc_lo, v1, v11, vcc_lo
	s_delay_alu instid0(VALU_DEP_3) | instskip(SKIP_4) | instid1(VALU_DEP_4)
	v_lshlrev_b64_e32 v[16:17], 3, v[24:25]
	v_add_co_u32 v14, vcc_lo, v0, v14
	v_add_nc_u32_e32 v24, 0x640, v22
	s_wait_alu 0xfffd
	v_add_co_ci_u32_e32 v15, vcc_lo, v1, v15, vcc_lo
	v_add_co_u32 v16, vcc_lo, v0, v16
	s_wait_alu 0xfffd
	v_add_co_ci_u32_e32 v17, vcc_lo, v1, v17, vcc_lo
	v_lshlrev_b64_e32 v[18:19], 3, v[24:25]
	v_add_nc_u32_e32 v24, 0x708, v22
	s_wait_dscnt 0x1
	s_clause 0x1
	global_store_b64 v[12:13], v[2:3], off
	global_store_b64 v[10:11], v[4:5], off
	s_wait_dscnt 0x0
	s_clause 0x1
	global_store_b64 v[14:15], v[6:7], off
	global_store_b64 v[16:17], v[8:9], off
	v_add_nc_u32_e32 v6, 0x3e00, v26
	ds_load_2addr_b64 v[2:5], v20 offset1:200
	v_add_nc_u32_e32 v20, 0x4a00, v26
	v_lshlrev_b64_e32 v[10:11], 3, v[24:25]
	v_add_nc_u32_e32 v24, 0x7d0, v22
	ds_load_2addr_b64 v[6:9], v6 offset0:16 offset1:216
	v_add_co_u32 v12, vcc_lo, v0, v18
	s_wait_alu 0xfffd
	v_add_co_ci_u32_e32 v13, vcc_lo, v1, v19, vcc_lo
	v_lshlrev_b64_e32 v[14:15], 3, v[24:25]
	v_add_nc_u32_e32 v24, 0x898, v22
	v_add_co_u32 v10, vcc_lo, v0, v10
	s_wait_alu 0xfffd
	v_add_co_ci_u32_e32 v11, vcc_lo, v1, v11, vcc_lo
	s_delay_alu instid0(VALU_DEP_3) | instskip(SKIP_4) | instid1(VALU_DEP_4)
	v_lshlrev_b64_e32 v[16:17], 3, v[24:25]
	v_add_co_u32 v14, vcc_lo, v0, v14
	v_add_nc_u32_e32 v24, 0x960, v22
	s_wait_alu 0xfffd
	v_add_co_ci_u32_e32 v15, vcc_lo, v1, v15, vcc_lo
	v_add_co_u32 v16, vcc_lo, v0, v16
	s_wait_alu 0xfffd
	v_add_co_ci_u32_e32 v17, vcc_lo, v1, v17, vcc_lo
	v_lshlrev_b64_e32 v[18:19], 3, v[24:25]
	v_add_nc_u32_e32 v24, 0xa28, v22
	s_wait_dscnt 0x1
	s_clause 0x1
	global_store_b64 v[12:13], v[2:3], off
	global_store_b64 v[10:11], v[4:5], off
	s_wait_dscnt 0x0
	s_clause 0x1
	global_store_b64 v[14:15], v[6:7], off
	global_store_b64 v[16:17], v[8:9], off
	v_add_nc_u32_e32 v6, 0x5600, v26
	ds_load_2addr_b64 v[2:5], v20 offset0:32 offset1:232
	v_add_nc_u32_e32 v20, 0x6400, v26
	v_lshlrev_b64_e32 v[10:11], 3, v[24:25]
	v_add_nc_u32_e32 v24, 0xaf0, v22
	ds_load_2addr_b64 v[6:9], v6 offset0:48 offset1:248
	v_add_co_u32 v12, vcc_lo, v0, v18
	s_wait_alu 0xfffd
	v_add_co_ci_u32_e32 v13, vcc_lo, v1, v19, vcc_lo
	v_lshlrev_b64_e32 v[14:15], 3, v[24:25]
	v_add_nc_u32_e32 v24, 0xbb8, v22
	v_add_co_u32 v10, vcc_lo, v0, v10
	s_wait_alu 0xfffd
	v_add_co_ci_u32_e32 v11, vcc_lo, v1, v11, vcc_lo
	s_delay_alu instid0(VALU_DEP_3) | instskip(SKIP_4) | instid1(VALU_DEP_3)
	v_lshlrev_b64_e32 v[16:17], 3, v[24:25]
	v_add_nc_u32_e32 v24, 0xc80, v22
	v_add_co_u32 v14, vcc_lo, v0, v14
	s_wait_alu 0xfffd
	v_add_co_ci_u32_e32 v15, vcc_lo, v1, v15, vcc_lo
	v_lshlrev_b64_e32 v[18:19], 3, v[24:25]
	v_add_nc_u32_e32 v24, 0xd48, v22
	v_add_co_u32 v16, vcc_lo, v0, v16
	s_wait_alu 0xfffd
	v_add_co_ci_u32_e32 v17, vcc_lo, v1, v17, vcc_lo
	s_wait_dscnt 0x1
	s_clause 0x1
	global_store_b64 v[12:13], v[2:3], off
	global_store_b64 v[10:11], v[4:5], off
	s_wait_dscnt 0x0
	s_clause 0x1
	global_store_b64 v[14:15], v[6:7], off
	global_store_b64 v[16:17], v[8:9], off
	v_lshlrev_b64_e32 v[10:11], 3, v[24:25]
	v_add_nc_u32_e32 v24, 0xe10, v22
	ds_load_2addr_b64 v[2:5], v20 offset1:200
	ds_load_2addr_b64 v[6:9], v21 offset0:16 offset1:216
	v_add_co_u32 v12, vcc_lo, v0, v18
	v_lshlrev_b64_e32 v[14:15], 3, v[24:25]
	v_add_nc_u32_e32 v24, 0xed8, v22
	s_wait_alu 0xfffd
	v_add_co_ci_u32_e32 v13, vcc_lo, v1, v19, vcc_lo
	v_add_co_u32 v10, vcc_lo, v0, v10
	s_delay_alu instid0(VALU_DEP_3)
	v_lshlrev_b64_e32 v[16:17], 3, v[24:25]
	s_wait_alu 0xfffd
	v_add_co_ci_u32_e32 v11, vcc_lo, v1, v11, vcc_lo
	v_add_co_u32 v14, vcc_lo, v0, v14
	s_wait_alu 0xfffd
	v_add_co_ci_u32_e32 v15, vcc_lo, v1, v15, vcc_lo
	v_add_co_u32 v16, vcc_lo, v0, v16
	s_wait_alu 0xfffd
	v_add_co_ci_u32_e32 v17, vcc_lo, v1, v17, vcc_lo
	v_cmp_eq_u32_e32 vcc_lo, 0xc7, v22
	s_wait_dscnt 0x1
	s_clause 0x1
	global_store_b64 v[12:13], v[2:3], off
	global_store_b64 v[10:11], v[4:5], off
	s_wait_dscnt 0x0
	s_clause 0x1
	global_store_b64 v[14:15], v[6:7], off
	global_store_b64 v[16:17], v[8:9], off
	s_and_b32 exec_lo, exec_lo, vcc_lo
	s_cbranch_execz .LBB0_20
; %bb.19:
	v_mov_b32_e32 v2, 0
	ds_load_b64 v[2:3], v2 offset:32000
	s_wait_dscnt 0x0
	global_store_b64 v[0:1], v[2:3], off offset:32000
.LBB0_20:
	s_nop 0
	s_sendmsg sendmsg(MSG_DEALLOC_VGPRS)
	s_endpgm
	.section	.rodata,"a",@progbits
	.p2align	6, 0x0
	.amdhsa_kernel fft_rtc_back_len4000_factors_10_10_10_4_wgs_200_tpt_200_halfLds_sp_op_CI_CI_unitstride_sbrr_R2C_dirReg
		.amdhsa_group_segment_fixed_size 0
		.amdhsa_private_segment_fixed_size 0
		.amdhsa_kernarg_size 104
		.amdhsa_user_sgpr_count 2
		.amdhsa_user_sgpr_dispatch_ptr 0
		.amdhsa_user_sgpr_queue_ptr 0
		.amdhsa_user_sgpr_kernarg_segment_ptr 1
		.amdhsa_user_sgpr_dispatch_id 0
		.amdhsa_user_sgpr_private_segment_size 0
		.amdhsa_wavefront_size32 1
		.amdhsa_uses_dynamic_stack 0
		.amdhsa_enable_private_segment 0
		.amdhsa_system_sgpr_workgroup_id_x 1
		.amdhsa_system_sgpr_workgroup_id_y 0
		.amdhsa_system_sgpr_workgroup_id_z 0
		.amdhsa_system_sgpr_workgroup_info 0
		.amdhsa_system_vgpr_workitem_id 0
		.amdhsa_next_free_vgpr 95
		.amdhsa_next_free_sgpr 39
		.amdhsa_reserve_vcc 1
		.amdhsa_float_round_mode_32 0
		.amdhsa_float_round_mode_16_64 0
		.amdhsa_float_denorm_mode_32 3
		.amdhsa_float_denorm_mode_16_64 3
		.amdhsa_fp16_overflow 0
		.amdhsa_workgroup_processor_mode 1
		.amdhsa_memory_ordered 1
		.amdhsa_forward_progress 0
		.amdhsa_round_robin_scheduling 0
		.amdhsa_exception_fp_ieee_invalid_op 0
		.amdhsa_exception_fp_denorm_src 0
		.amdhsa_exception_fp_ieee_div_zero 0
		.amdhsa_exception_fp_ieee_overflow 0
		.amdhsa_exception_fp_ieee_underflow 0
		.amdhsa_exception_fp_ieee_inexact 0
		.amdhsa_exception_int_div_zero 0
	.end_amdhsa_kernel
	.text
.Lfunc_end0:
	.size	fft_rtc_back_len4000_factors_10_10_10_4_wgs_200_tpt_200_halfLds_sp_op_CI_CI_unitstride_sbrr_R2C_dirReg, .Lfunc_end0-fft_rtc_back_len4000_factors_10_10_10_4_wgs_200_tpt_200_halfLds_sp_op_CI_CI_unitstride_sbrr_R2C_dirReg
                                        ; -- End function
	.section	.AMDGPU.csdata,"",@progbits
; Kernel info:
; codeLenInByte = 14892
; NumSgprs: 41
; NumVgprs: 95
; ScratchSize: 0
; MemoryBound: 0
; FloatMode: 240
; IeeeMode: 1
; LDSByteSize: 0 bytes/workgroup (compile time only)
; SGPRBlocks: 5
; VGPRBlocks: 11
; NumSGPRsForWavesPerEU: 41
; NumVGPRsForWavesPerEU: 95
; Occupancy: 16
; WaveLimiterHint : 1
; COMPUTE_PGM_RSRC2:SCRATCH_EN: 0
; COMPUTE_PGM_RSRC2:USER_SGPR: 2
; COMPUTE_PGM_RSRC2:TRAP_HANDLER: 0
; COMPUTE_PGM_RSRC2:TGID_X_EN: 1
; COMPUTE_PGM_RSRC2:TGID_Y_EN: 0
; COMPUTE_PGM_RSRC2:TGID_Z_EN: 0
; COMPUTE_PGM_RSRC2:TIDIG_COMP_CNT: 0
	.text
	.p2alignl 7, 3214868480
	.fill 96, 4, 3214868480
	.type	__hip_cuid_f9b201de5cf58f96,@object ; @__hip_cuid_f9b201de5cf58f96
	.section	.bss,"aw",@nobits
	.globl	__hip_cuid_f9b201de5cf58f96
__hip_cuid_f9b201de5cf58f96:
	.byte	0                               ; 0x0
	.size	__hip_cuid_f9b201de5cf58f96, 1

	.ident	"AMD clang version 19.0.0git (https://github.com/RadeonOpenCompute/llvm-project roc-6.4.0 25133 c7fe45cf4b819c5991fe208aaa96edf142730f1d)"
	.section	".note.GNU-stack","",@progbits
	.addrsig
	.addrsig_sym __hip_cuid_f9b201de5cf58f96
	.amdgpu_metadata
---
amdhsa.kernels:
  - .args:
      - .actual_access:  read_only
        .address_space:  global
        .offset:         0
        .size:           8
        .value_kind:     global_buffer
      - .offset:         8
        .size:           8
        .value_kind:     by_value
      - .actual_access:  read_only
        .address_space:  global
        .offset:         16
        .size:           8
        .value_kind:     global_buffer
      - .actual_access:  read_only
        .address_space:  global
        .offset:         24
        .size:           8
        .value_kind:     global_buffer
      - .actual_access:  read_only
        .address_space:  global
        .offset:         32
        .size:           8
        .value_kind:     global_buffer
      - .offset:         40
        .size:           8
        .value_kind:     by_value
      - .actual_access:  read_only
        .address_space:  global
        .offset:         48
        .size:           8
        .value_kind:     global_buffer
      - .actual_access:  read_only
        .address_space:  global
        .offset:         56
        .size:           8
        .value_kind:     global_buffer
      - .offset:         64
        .size:           4
        .value_kind:     by_value
      - .actual_access:  read_only
        .address_space:  global
        .offset:         72
        .size:           8
        .value_kind:     global_buffer
      - .actual_access:  read_only
        .address_space:  global
        .offset:         80
        .size:           8
        .value_kind:     global_buffer
      - .actual_access:  read_only
        .address_space:  global
        .offset:         88
        .size:           8
        .value_kind:     global_buffer
      - .actual_access:  write_only
        .address_space:  global
        .offset:         96
        .size:           8
        .value_kind:     global_buffer
    .group_segment_fixed_size: 0
    .kernarg_segment_align: 8
    .kernarg_segment_size: 104
    .language:       OpenCL C
    .language_version:
      - 2
      - 0
    .max_flat_workgroup_size: 200
    .name:           fft_rtc_back_len4000_factors_10_10_10_4_wgs_200_tpt_200_halfLds_sp_op_CI_CI_unitstride_sbrr_R2C_dirReg
    .private_segment_fixed_size: 0
    .sgpr_count:     41
    .sgpr_spill_count: 0
    .symbol:         fft_rtc_back_len4000_factors_10_10_10_4_wgs_200_tpt_200_halfLds_sp_op_CI_CI_unitstride_sbrr_R2C_dirReg.kd
    .uniform_work_group_size: 1
    .uses_dynamic_stack: false
    .vgpr_count:     95
    .vgpr_spill_count: 0
    .wavefront_size: 32
    .workgroup_processor_mode: 1
amdhsa.target:   amdgcn-amd-amdhsa--gfx1201
amdhsa.version:
  - 1
  - 2
...

	.end_amdgpu_metadata
